;; amdgpu-corpus repo=ROCm/rocFFT kind=compiled arch=gfx906 opt=O3
	.text
	.amdgcn_target "amdgcn-amd-amdhsa--gfx906"
	.amdhsa_code_object_version 6
	.protected	bluestein_single_back_len13_dim1_half_op_CI_CI ; -- Begin function bluestein_single_back_len13_dim1_half_op_CI_CI
	.globl	bluestein_single_back_len13_dim1_half_op_CI_CI
	.p2align	8
	.type	bluestein_single_back_len13_dim1_half_op_CI_CI,@function
bluestein_single_back_len13_dim1_half_op_CI_CI: ; @bluestein_single_back_len13_dim1_half_op_CI_CI
; %bb.0:
	s_load_dwordx4 s[12:15], s[4:5], 0x28
	v_lshl_or_b32 v16, s6, 6, v0
	v_mov_b32_e32 v17, 0
	s_waitcnt lgkmcnt(0)
	v_cmp_gt_u64_e32 vcc, s[12:13], v[16:17]
	s_and_saveexec_b64 s[0:1], vcc
	s_cbranch_execz .LBB0_2
; %bb.1:
	s_load_dwordx4 s[0:3], s[4:5], 0x18
	s_load_dwordx2 s[6:7], s[4:5], 0x0
	v_mov_b32_e32 v4, s15
	s_mov_b32 s15, 0xbbc4b3a8
	s_mov_b32 s20, 0xb770
	s_waitcnt lgkmcnt(0)
	s_load_dwordx4 s[8:11], s[0:1], 0x0
	global_load_dwordx4 v[12:15], v17, s[6:7]
	s_mov_b32 s21, 0xbbf1
	s_mov_b32 s16, 0xb94e
	s_movk_i32 s19, 0x3770
	s_waitcnt lgkmcnt(0)
	v_mad_u64_u32 v[1:2], s[0:1], s10, v16, 0
	s_lshl_b64 s[0:1], s[8:9], 2
	v_mov_b32_e32 v5, s1
	v_mad_u64_u32 v[2:3], s[10:11], s11, v16, v[2:3]
	s_lshl_b64 s[10:11], s[8:9], 3
	v_mov_b32_e32 v6, s11
	v_lshlrev_b64 v[1:2], 2, v[1:2]
	s_lshl_b64 s[12:13], s[8:9], 4
	v_add_co_u32_e32 v1, vcc, s14, v1
	v_addc_co_u32_e32 v2, vcc, v4, v2, vcc
	v_add_co_u32_e32 v3, vcc, s0, v1
	v_addc_co_u32_e32 v4, vcc, v2, v5, vcc
	;; [unrolled: 2-line block ×3, first 2 shown]
	v_mad_u64_u32 v[9:10], s[10:11], s8, 48, v[1:2]
	v_mov_b32_e32 v8, s13
	v_add_co_u32_e32 v7, vcc, s12, v1
	s_lshl_b64 s[0:1], s[8:9], 5
	v_addc_co_u32_e32 v8, vcc, v2, v8, vcc
	v_mov_b32_e32 v11, s1
	v_add_co_u32_e32 v18, vcc, s0, v1
	v_addc_co_u32_e32 v19, vcc, v2, v11, vcc
	v_mad_u64_u32 v[10:11], s[0:1], s9, 48, v[10:11]
	global_load_dword v26, v[5:6], off
	global_load_dword v27, v[7:8], off
	;; [unrolled: 1-line block ×3, first 2 shown]
                                        ; kill: killed $vgpr7 killed $vgpr8
                                        ; kill: killed $vgpr18 killed $vgpr19
                                        ; kill: killed $vgpr5 killed $vgpr6
	global_load_dword v29, v[9:10], off
	global_load_dword v30, v[3:4], off
	;; [unrolled: 1-line block ×3, first 2 shown]
	v_mad_u64_u32 v[3:4], s[0:1], s8, 12, v[1:2]
	global_load_dwordx4 v[8:11], v17, s[6:7] offset:16
	v_mad_u64_u32 v[18:19], s[0:1], s8, 40, v[1:2]
	v_mad_u64_u32 v[4:5], s[0:1], s9, 12, v[4:5]
	;; [unrolled: 1-line block ×3, first 2 shown]
	global_load_dword v32, v[3:4], off
	v_mad_u64_u32 v[3:4], s[0:1], s8, 20, v[1:2]
	s_mov_b32 s12, 0xffff
	s_mov_b32 s13, 0xb9fd
	v_mad_u64_u32 v[4:5], s[0:1], s9, 20, v[4:5]
	v_mad_u64_u32 v[5:6], s[0:1], s8, 24, v[1:2]
	global_load_dword v33, v[3:4], off
	v_mad_u64_u32 v[3:4], s[0:1], s8, 28, v[1:2]
	v_mad_u64_u32 v[6:7], s[0:1], s9, 24, v[6:7]
	;; [unrolled: 1-line block ×3, first 2 shown]
	v_mov_b32_e32 v7, v19
	v_mov_b32_e32 v19, v21
	v_mov_b32_e32 v4, v22
	global_load_dword v34, v[5:6], off
	global_load_dword v35, v[3:4], off
	v_mad_u64_u32 v[1:2], s[0:1], s8, 36, v[1:2]
	s_mov_b32 s14, 0xb3a8bbc4
	s_movk_i32 s22, 0x3a95
	s_mov_b32 s18, 0xb3a8
	s_movk_i32 s17, 0x394e
	s_movk_i32 s23, 0x33a8
	s_waitcnt vmcnt(11)
	v_lshrrev_b32_e32 v25, 16, v13
	v_lshrrev_b32_e32 v24, 16, v15
	s_waitcnt vmcnt(4)
	v_mad_u64_u32 v[3:4], s[0:1], s9, 40, v[7:8]
	v_mad_u64_u32 v[4:5], s[0:1], s9, 44, v[19:20]
	v_mov_b32_e32 v19, v3
	v_lshrrev_b32_e32 v23, 16, v9
	v_mov_b32_e32 v21, v4
	global_load_dword v36, v[18:19], off
	global_load_dword v37, v[20:21], off
	v_mul_u32_u24_e32 v21, 52, v0
	v_mov_b32_e32 v0, v2
	v_mad_u64_u32 v[2:3], s[0:1], s9, 36, v[0:1]
	v_mov_b32_e32 v18, 0xffff
	s_load_dwordx4 s[8:11], s[2:3], 0x0
	global_load_dwordx4 v[4:7], v17, s[6:7] offset:32
	global_load_dword v38, v[1:2], off
	v_and_b32_sdwa v22, v18, v12 dst_sel:DWORD dst_unused:UNUSED_PAD src0_sel:DWORD src1_sel:WORD_1
	v_and_b32_e32 v0, 0xffff, v12
	v_bfi_b32 v2, s12, v31, v30
	v_lshl_or_b32 v22, v25, 16, v22
	v_alignbit_b32 v3, v30, v31, 16
	v_lshl_or_b32 v0, v13, 16, v0
	v_pk_mul_f16 v2, v22, v2
	v_lshrrev_b32_e32 v1, 16, v30
	v_mul_f16_sdwa v19, v12, v31 dst_sel:DWORD dst_unused:UNUSED_PAD src0_sel:WORD_1 src1_sel:WORD_1
	v_pk_mul_f16 v20, v0, v3
	v_pk_fma_f16 v0, v0, v3, v2
	v_mul_f16_e32 v3, v25, v30
	v_fma_f16 v19, v12, v31, v19
	v_fma_f16 v1, v13, v1, -v3
	v_sub_f16_e32 v2, v20, v2
	v_alignbit_b32 v0, v1, v0, 16
	v_pack_b32_f16 v1, v19, v2
	v_mul_f16_sdwa v3, v14, v26 dst_sel:DWORD dst_unused:UNUSED_PAD src0_sel:WORD_1 src1_sel:WORD_1
	v_and_b32_sdwa v22, v18, v14 dst_sel:DWORD dst_unused:UNUSED_PAD src0_sel:DWORD src1_sel:WORD_1
	ds_write2_b32 v21, v1, v0 offset1:1
	s_waitcnt vmcnt(7)
	v_bfi_b32 v1, s12, v26, v32
	v_fma_f16 v19, v14, v26, v3
	v_and_b32_e32 v3, 0xffff, v14
	v_lshl_or_b32 v22, v24, 16, v22
	v_alignbit_b32 v2, v32, v26, 16
	v_lshl_or_b32 v3, v15, 16, v3
	v_pk_mul_f16 v1, v22, v1
	v_lshrrev_b32_e32 v0, 16, v32
	v_pk_mul_f16 v20, v3, v2
	v_pk_fma_f16 v2, v3, v2, v1
	v_mul_f16_e32 v3, v24, v32
	v_fma_f16 v0, v15, v0, -v3
	v_sub_f16_e32 v20, v20, v1
	v_alignbit_b32 v22, v0, v2, 16
	global_load_dwordx4 v[0:3], v17, s[6:7] offset:48
	v_mul_f16_sdwa v30, v8, v27 dst_sel:DWORD dst_unused:UNUSED_PAD src0_sel:WORD_1 src1_sel:WORD_1
	v_and_b32_sdwa v32, v18, v8 dst_sel:DWORD dst_unused:UNUSED_PAD src0_sel:DWORD src1_sel:WORD_1
	v_pack_b32_f16 v19, v19, v20
	s_waitcnt vmcnt(7)
	v_bfi_b32 v20, s12, v27, v33
	v_alignbit_b32 v26, v33, v27, 16
	v_fma_f16 v27, v8, v27, v30
	v_and_b32_e32 v30, 0xffff, v8
	v_lshl_or_b32 v32, v23, 16, v32
	v_lshl_or_b32 v30, v9, 16, v30
	v_pk_mul_f16 v20, v32, v20
	ds_write2_b32 v21, v19, v22 offset0:2 offset1:3
	v_lshrrev_b32_e32 v19, 16, v33
	v_pk_mul_f16 v31, v30, v26
	v_pk_fma_f16 v26, v30, v26, v20
	v_mul_f16_e32 v30, v23, v33
	v_fma_f16 v19, v9, v19, -v30
	v_sub_f16_e32 v20, v31, v20
	v_lshrrev_b32_e32 v22, 16, v11
	v_alignbit_b32 v19, v19, v26, 16
	v_pack_b32_f16 v20, v27, v20
	v_and_b32_sdwa v32, v18, v10 dst_sel:DWORD dst_unused:UNUSED_PAD src0_sel:DWORD src1_sel:WORD_1
	ds_write2_b32 v21, v20, v19 offset0:4 offset1:5
	s_waitcnt vmcnt(5)
	v_bfi_b32 v20, s12, v34, v35
	v_and_b32_e32 v30, 0xffff, v10
	v_lshl_or_b32 v32, v22, 16, v32
	v_alignbit_b32 v26, v35, v34, 16
	v_lshl_or_b32 v30, v11, 16, v30
	v_pk_mul_f16 v20, v32, v20
	v_lshrrev_b32_e32 v19, 16, v35
	v_mul_f16_sdwa v27, v10, v34 dst_sel:DWORD dst_unused:UNUSED_PAD src0_sel:WORD_1 src1_sel:WORD_1
	v_pk_mul_f16 v31, v30, v26
	v_pk_fma_f16 v26, v30, v26, v20
	v_mul_f16_e32 v30, v22, v35
	v_fma_f16 v27, v10, v34, v27
	v_fma_f16 v19, v11, v19, -v30
	v_sub_f16_e32 v20, v31, v20
	v_alignbit_b32 v19, v19, v26, 16
	v_pack_b32_f16 v20, v27, v20
	ds_write2_b32 v21, v20, v19 offset0:6 offset1:7
	s_movk_i32 s1, 0x3b15
	s_movk_i32 s0, 0x388b
	s_mov_b32 s2, 0xb5ac
	s_movk_i32 s3, 0x2fb7
	s_waitcnt vmcnt(2)
	v_lshrrev_b32_e32 v20, 16, v5
	v_mul_f16_sdwa v31, v4, v28 dst_sel:DWORD dst_unused:UNUSED_PAD src0_sel:WORD_1 src1_sel:WORD_1
	v_and_b32_sdwa v33, v18, v4 dst_sel:DWORD dst_unused:UNUSED_PAD src0_sel:DWORD src1_sel:WORD_1
	s_waitcnt vmcnt(1)
	v_bfi_b32 v27, s12, v28, v38
	v_alignbit_b32 v30, v38, v28, 16
	v_fma_f16 v28, v4, v28, v31
	v_and_b32_e32 v31, 0xffff, v4
	v_lshl_or_b32 v33, v20, 16, v33
	v_lshl_or_b32 v31, v5, 16, v31
	v_pk_mul_f16 v27, v33, v27
	v_lshrrev_b32_e32 v26, 16, v38
	v_pk_mul_f16 v32, v31, v30
	v_pk_fma_f16 v30, v31, v30, v27
	v_mul_f16_e32 v31, v20, v38
	v_fma_f16 v26, v5, v26, -v31
	v_sub_f16_e32 v27, v32, v27
	v_lshrrev_b32_e32 v19, 16, v7
	v_alignbit_b32 v26, v26, v30, 16
	v_pack_b32_f16 v27, v28, v27
	v_and_b32_sdwa v18, v18, v6 dst_sel:DWORD dst_unused:UNUSED_PAD src0_sel:DWORD src1_sel:WORD_1
	ds_write2_b32 v21, v27, v26 offset0:8 offset1:9
	v_bfi_b32 v27, s12, v36, v37
	v_and_b32_e32 v31, 0xffff, v6
	v_lshl_or_b32 v18, v19, 16, v18
	v_alignbit_b32 v28, v37, v36, 16
	v_lshl_or_b32 v31, v7, 16, v31
	v_pk_mul_f16 v18, v18, v27
	v_lshrrev_b32_e32 v26, 16, v37
	v_mul_f16_sdwa v30, v6, v36 dst_sel:DWORD dst_unused:UNUSED_PAD src0_sel:WORD_1 src1_sel:WORD_1
	v_pk_mul_f16 v32, v31, v28
	v_pk_fma_f16 v27, v31, v28, v18
	v_mul_f16_e32 v28, v19, v37
	v_fma_f16 v30, v6, v36, v30
	v_fma_f16 v26, v7, v26, -v28
	v_sub_f16_e32 v18, v32, v18
	v_alignbit_b32 v26, v26, v27, 16
	v_pack_b32_f16 v18, v30, v18
	ds_write2_b32 v21, v18, v26 offset0:10 offset1:11
	v_lshrrev_b32_e32 v18, 16, v29
	s_waitcnt vmcnt(0)
	v_mul_f16_sdwa v26, v0, v18 dst_sel:DWORD dst_unused:UNUSED_PAD src0_sel:WORD_1 src1_sel:DWORD
	v_mul_f16_sdwa v27, v0, v29 dst_sel:DWORD dst_unused:UNUSED_PAD src0_sel:WORD_1 src1_sel:DWORD
	v_fma_f16 v26, v0, v29, v26
	v_fma_f16 v18, v0, v18, -v27
	v_pack_b32_f16 v18, v26, v18
	ds_write_b32 v21, v18 offset:48
	s_waitcnt lgkmcnt(0)
	; wave barrier
	s_waitcnt lgkmcnt(0)
	ds_read2_b32 v[32:33], v21 offset0:5 offset1:6
	ds_read2_b32 v[34:35], v21 offset0:7 offset1:8
	ds_read_b32 v29, v21
	ds_read2_b32 v[36:37], v21 offset0:1 offset1:2
	ds_read2_b32 v[38:39], v21 offset0:3 offset1:4
	;; [unrolled: 1-line block ×4, first 2 shown]
	s_waitcnt lgkmcnt(5)
	v_add_f16_e32 v18, v35, v32
	s_waitcnt lgkmcnt(3)
	v_add_f16_e32 v30, v36, v29
	v_add_f16_sdwa v31, v36, v29 dst_sel:DWORD dst_unused:UNUSED_PAD src0_sel:WORD_1 src1_sel:WORD_1
	v_add_f16_e32 v30, v30, v37
	v_add_f16_sdwa v31, v31, v37 dst_sel:DWORD dst_unused:UNUSED_PAD src0_sel:DWORD src1_sel:WORD_1
	s_waitcnt lgkmcnt(2)
	v_add_f16_e32 v30, v30, v38
	v_add_f16_sdwa v31, v31, v38 dst_sel:DWORD dst_unused:UNUSED_PAD src0_sel:DWORD src1_sel:WORD_1
	v_add_f16_e32 v30, v30, v39
	v_add_f16_sdwa v31, v31, v39 dst_sel:DWORD dst_unused:UNUSED_PAD src0_sel:DWORD src1_sel:WORD_1
	;; [unrolled: 2-line block ×4, first 2 shown]
	v_add_f16_sdwa v26, v35, v32 dst_sel:DWORD dst_unused:UNUSED_PAD src0_sel:WORD_1 src1_sel:WORD_1
	v_sub_f16_e32 v27, v32, v35
	v_sub_f16_sdwa v28, v32, v35 dst_sel:DWORD dst_unused:UNUSED_PAD src0_sel:WORD_1 src1_sel:WORD_1
	v_add_f16_e32 v30, v34, v33
	v_add_f16_sdwa v31, v34, v33 dst_sel:DWORD dst_unused:UNUSED_PAD src0_sel:WORD_1 src1_sel:WORD_1
	v_sub_f16_e32 v32, v33, v34
	v_sub_f16_sdwa v33, v33, v34 dst_sel:DWORD dst_unused:UNUSED_PAD src0_sel:WORD_1 src1_sel:WORD_1
	v_add_f16_e32 v44, v44, v34
	v_add_f16_sdwa v34, v45, v34 dst_sel:DWORD dst_unused:UNUSED_PAD src0_sel:DWORD src1_sel:WORD_1
	v_add_f16_e32 v44, v44, v35
	v_add_f16_sdwa v34, v34, v35 dst_sel:DWORD dst_unused:UNUSED_PAD src0_sel:DWORD src1_sel:WORD_1
	s_waitcnt lgkmcnt(1)
	v_add_f16_e32 v44, v44, v40
	v_add_f16_sdwa v34, v34, v40 dst_sel:DWORD dst_unused:UNUSED_PAD src0_sel:DWORD src1_sel:WORD_1
	v_add_f16_e32 v35, v41, v38
	v_add_f16_sdwa v45, v41, v38 dst_sel:DWORD dst_unused:UNUSED_PAD src0_sel:WORD_1 src1_sel:WORD_1
	v_sub_f16_e32 v46, v38, v41
	v_sub_f16_sdwa v38, v38, v41 dst_sel:DWORD dst_unused:UNUSED_PAD src0_sel:WORD_1 src1_sel:WORD_1
	v_add_f16_e32 v47, v40, v39
	v_add_f16_sdwa v48, v40, v39 dst_sel:DWORD dst_unused:UNUSED_PAD src0_sel:WORD_1 src1_sel:WORD_1
	v_sub_f16_e32 v49, v39, v40
	v_sub_f16_sdwa v39, v39, v40 dst_sel:DWORD dst_unused:UNUSED_PAD src0_sel:WORD_1 src1_sel:WORD_1
	v_add_f16_e32 v40, v44, v41
	v_add_f16_sdwa v34, v34, v41 dst_sel:DWORD dst_unused:UNUSED_PAD src0_sel:DWORD src1_sel:WORD_1
	s_waitcnt lgkmcnt(0)
	v_add_f16_e32 v41, v43, v36
	v_add_f16_sdwa v44, v43, v36 dst_sel:DWORD dst_unused:UNUSED_PAD src0_sel:WORD_1 src1_sel:WORD_1
	v_sub_f16_e32 v50, v36, v43
	v_sub_f16_sdwa v36, v36, v43 dst_sel:DWORD dst_unused:UNUSED_PAD src0_sel:WORD_1 src1_sel:WORD_1
	v_add_f16_e32 v51, v42, v37
	v_add_f16_sdwa v52, v42, v37 dst_sel:DWORD dst_unused:UNUSED_PAD src0_sel:WORD_1 src1_sel:WORD_1
	v_sub_f16_e32 v53, v37, v42
	v_sub_f16_sdwa v37, v37, v42 dst_sel:DWORD dst_unused:UNUSED_PAD src0_sel:WORD_1 src1_sel:WORD_1
	v_add_f16_e32 v40, v40, v42
	v_add_f16_sdwa v34, v34, v42 dst_sel:DWORD dst_unused:UNUSED_PAD src0_sel:DWORD src1_sel:WORD_1
	v_mul_f16_e32 v42, 0xb770, v36
	v_add_f16_e32 v40, v40, v43
	v_add_f16_sdwa v34, v34, v43 dst_sel:WORD_1 dst_unused:UNUSED_PAD src0_sel:DWORD src1_sel:WORD_1
	v_fma_f16 v43, v41, s1, -v42
	v_mul_f16_e32 v54, 0xba95, v37
	v_add_f16_e32 v43, v43, v29
	v_fma_f16 v55, v51, s0, -v54
	v_add_f16_e32 v43, v55, v43
	v_mul_f16_e32 v55, 0xb770, v50
	v_fma_f16 v56, v44, s1, v55
	v_mul_f16_e32 v57, 0xba95, v53
	v_add_f16_sdwa v56, v56, v29 dst_sel:DWORD dst_unused:UNUSED_PAD src0_sel:DWORD src1_sel:WORD_1
	v_fma_f16 v58, v52, s0, v57
	v_add_f16_e32 v56, v58, v56
	v_mul_f16_e32 v58, 0xba95, v36
	v_fma_f16 v59, v41, s0, -v58
	v_mul_f16_e32 v60, 0xbb7b, v37
	v_add_f16_e32 v59, v59, v29
	v_fma_f16 v61, v51, s2, -v60
	v_add_f16_e32 v59, v61, v59
	v_mul_f16_e32 v61, 0xba95, v50
	v_fma_f16 v62, v44, s0, v61
	v_mul_f16_e32 v63, 0xbb7b, v53
	v_add_f16_sdwa v62, v62, v29 dst_sel:DWORD dst_unused:UNUSED_PAD src0_sel:DWORD src1_sel:WORD_1
	v_fma_f16 v64, v52, s2, v63
	v_add_f16_e32 v62, v64, v62
	v_mul_f16_e32 v64, 0xbbf1, v38
	v_fma_f16 v65, v35, s3, -v64
	v_add_f16_e32 v43, v65, v43
	v_mul_f16_e32 v65, 0xbbf1, v46
	v_fma_f16 v66, v45, s3, v65
	v_add_f16_e32 v56, v66, v56
	s_mov_b32 s12, 0xbbc4
	v_mul_f16_e32 v66, 0xb3a8, v38
	v_fma_f16 v67, v35, s12, -v66
	v_add_f16_e32 v59, v67, v59
	v_mul_f16_e32 v67, 0xb3a8, v46
	v_fma_f16 v68, v45, s12, v67
	v_add_f16_e32 v62, v68, v62
	v_mul_f16_e32 v68, 0xbb7b, v39
	v_fma_f16 v69, v47, s2, -v68
	v_add_f16_e32 v43, v69, v43
	v_mul_f16_e32 v69, 0xbb7b, v49
	v_fma_f16 v70, v48, s2, v69
	v_add_f16_e32 v56, v70, v56
	;; [unrolled: 6-line block ×7, first 2 shown]
	v_pack_b32_f16 v59, v59, v62
	v_pack_b32_f16 v43, v43, v56
	ds_write2_b32 v21, v43, v59 offset0:1 offset1:2
	v_mul_f16_e32 v59, 0xbbf1, v50
	v_mul_f16_e32 v81, 0xbb7b, v50
	;; [unrolled: 1-line block ×3, first 2 shown]
	v_or_b32_e32 v34, v34, v40
	v_fma_f16 v40, v41, s1, v42
	v_fma_f16 v42, v44, s1, -v55
	v_fma_f16 v55, v44, s0, -v61
	v_mul_f16_e32 v56, 0xbbf1, v36
	v_fma_f16 v61, v44, s3, v59
	v_fma_f16 v59, v44, s3, -v59
	v_mul_f16_e32 v62, 0xbb7b, v36
	v_fma_f16 v82, v44, s2, v81
	v_fma_f16 v81, v44, s2, -v81
	v_fma_f16 v84, v44, s13, v83
	v_fma_f16 v83, v44, s13, -v83
	v_pack_b32_f16 v44, v44, v36
	v_mul_f16_e32 v36, 0xb94e, v36
	v_fma_f16 v43, v41, s0, v58
	v_fma_f16 v58, v41, s3, -v56
	v_fma_f16 v56, v41, s3, v56
	v_fma_f16 v80, v41, s2, -v62
	v_fma_f16 v62, v41, s2, v62
	v_fma_f16 v85, v41, s13, -v36
	v_fma_f16 v36, v41, s13, v36
	v_pack_b32_f16 v41, v50, v41
	v_pk_mul_f16 v41, v41, s15
	v_pk_fma_f16 v50, v44, s14, v41 neg_lo:[1,0,0] neg_hi:[1,0,0]
	v_pk_fma_f16 v86, v44, s14, v41
	v_pk_fma_f16 v41, v44, s14, v41 neg_lo:[0,0,1] neg_hi:[0,0,1]
	v_add_f16_e32 v40, v40, v29
	v_add_f16_sdwa v42, v42, v29 dst_sel:DWORD dst_unused:UNUSED_PAD src0_sel:DWORD src1_sel:WORD_1
	v_add_f16_e32 v43, v43, v29
	v_add_f16_sdwa v44, v55, v29 dst_sel:DWORD dst_unused:UNUSED_PAD src0_sel:DWORD src1_sel:WORD_1
	;; [unrolled: 2-line block ×8, first 2 shown]
	v_pk_add_f16 v50, v50, v29 op_sel:[0,1] op_sel_hi:[1,0]
	v_pk_add_f16 v85, v86, v29 op_sel:[0,1] op_sel_hi:[1,0]
	;; [unrolled: 1-line block ×3, first 2 shown]
	v_fma_f16 v41, v51, s0, v54
	v_add_f16_e32 v40, v41, v40
	v_fma_f16 v41, v52, s0, -v57
	v_add_f16_e32 v41, v41, v42
	v_fma_f16 v42, v51, s2, v60
	v_add_f16_e32 v42, v42, v43
	v_fma_f16 v43, v52, s2, -v63
	v_add_f16_e32 v43, v43, v44
	v_mul_f16_e32 v44, 0xb3a8, v37
	v_fma_f16 v54, v51, s12, -v44
	v_add_f16_e32 v54, v54, v55
	v_mul_f16_e32 v55, 0xb3a8, v53
	v_fma_f16 v44, v51, s12, v44
	v_fma_f16 v57, v52, s12, v55
	v_add_f16_e32 v44, v44, v56
	v_mul_f16_e32 v56, 0x394e, v37
	v_add_f16_e32 v57, v57, v58
	v_fma_f16 v58, v51, s13, -v56
	v_fma_f16 v55, v52, s12, -v55
	v_add_f16_e32 v58, v58, v61
	v_fma_f16 v56, v51, s13, v56
	v_mul_f16_e32 v61, 0x3bf1, v37
	v_add_f16_e32 v55, v55, v59
	v_mul_f16_e32 v59, 0x394e, v53
	v_add_f16_e32 v56, v56, v62
	v_fma_f16 v62, v51, s3, -v61
	v_fma_f16 v61, v51, s3, v61
	v_pack_b32_f16 v51, v53, v51
	s_mov_b32 s15, 0x3b153770
	v_fma_f16 v60, v52, s13, v59
	v_mul_f16_e32 v63, 0x3bf1, v53
	v_pack_b32_f16 v37, v52, v37
	s_mov_b32 s14, 0x37703b15
	v_pk_mul_f16 v51, v51, s15
	v_add_f16_e32 v60, v60, v80
	v_fma_f16 v59, v52, s13, -v59
	v_fma_f16 v80, v52, s3, v63
	v_add_f16_e32 v36, v61, v36
	v_fma_f16 v61, v52, s3, -v63
	v_pk_fma_f16 v52, v37, s14, v51 neg_lo:[1,0,0] neg_hi:[1,0,0]
	v_pk_add_f16 v50, v52, v50
	v_pk_fma_f16 v52, v37, s14, v51
	v_pk_fma_f16 v37, v37, s14, v51 neg_lo:[0,0,1] neg_hi:[0,0,1]
	v_pk_add_f16 v29, v37, v29
	v_fma_f16 v37, v35, s3, v64
	v_add_f16_e32 v37, v37, v40
	v_fma_f16 v40, v45, s3, -v65
	v_add_f16_e32 v40, v40, v41
	v_fma_f16 v41, v35, s12, v66
	v_add_f16_e32 v41, v41, v42
	v_fma_f16 v42, v45, s12, -v67
	v_add_f16_e32 v42, v42, v43
	v_mul_f16_e32 v43, 0x3b7b, v38
	v_fma_f16 v51, v35, s2, -v43
	v_mul_f16_e32 v53, 0x3b7b, v46
	v_fma_f16 v43, v35, s2, v43
	v_add_f16_e32 v51, v51, v54
	v_fma_f16 v54, v45, s2, v53
	v_add_f16_e32 v43, v43, v44
	v_fma_f16 v44, v45, s2, -v53
	v_mul_f16_e32 v53, 0x3770, v38
	v_add_f16_e32 v54, v54, v57
	v_add_f16_e32 v44, v44, v55
	v_fma_f16 v55, v35, s1, -v53
	v_mul_f16_e32 v57, 0x3770, v46
	v_fma_f16 v53, v35, s1, v53
	v_add_f16_e32 v59, v59, v81
	v_add_f16_e32 v55, v55, v58
	v_fma_f16 v58, v45, s1, v57
	v_add_f16_e32 v53, v53, v56
	v_fma_f16 v56, v45, s1, -v57
	v_mul_f16_e32 v57, 0xba95, v38
	v_add_f16_e32 v56, v56, v59
	v_fma_f16 v59, v35, s0, -v57
	v_fma_f16 v57, v35, s0, v57
	v_pack_b32_f16 v35, v46, v35
	s_mov_b32 s15, 0xb9fdb94e
	v_add_f16_e32 v62, v62, v82
	v_add_f16_e32 v58, v58, v60
	v_mul_f16_e32 v60, 0xba95, v46
	v_pack_b32_f16 v38, v45, v38
	s_mov_b32 s14, 0xb94eb9fd
	v_pk_mul_f16 v35, v35, s15
	v_add_f16_e32 v59, v59, v62
	v_fma_f16 v62, v45, s0, v60
	v_add_f16_e32 v36, v57, v36
	v_fma_f16 v57, v45, s0, -v60
	v_pk_fma_f16 v45, v38, s14, v35 neg_lo:[1,0,0] neg_hi:[1,0,0]
	v_pk_fma_f16 v46, v38, s14, v35
	v_pk_fma_f16 v35, v38, s14, v35 neg_lo:[0,0,1] neg_hi:[0,0,1]
	v_pk_add_f16 v29, v35, v29
	v_fma_f16 v35, v47, s2, v68
	v_add_f16_e32 v35, v35, v37
	v_fma_f16 v37, v48, s2, -v69
	v_fma_f16 v38, v47, s13, v70
	v_add_f16_e32 v37, v37, v40
	v_add_f16_e32 v38, v38, v41
	v_fma_f16 v40, v48, s13, -v71
	v_mul_f16_e32 v41, 0x3770, v39
	v_pk_add_f16 v45, v45, v50
	v_add_f16_e32 v40, v40, v42
	v_fma_f16 v42, v47, s1, -v41
	v_mul_f16_e32 v50, 0x3770, v49
	v_fma_f16 v41, v47, s1, v41
	v_add_f16_e32 v41, v41, v43
	v_fma_f16 v43, v48, s1, -v50
	v_add_f16_e32 v43, v43, v44
	v_mul_f16_e32 v44, 0xbbf1, v39
	v_pk_add_f16 v52, v52, v85
	v_add_f16_e32 v42, v42, v51
	v_fma_f16 v51, v48, s1, v50
	v_fma_f16 v50, v47, s3, -v44
	v_fma_f16 v44, v47, s3, v44
	v_pk_add_f16 v46, v46, v52
	v_mul_f16_e32 v52, 0xbbf1, v49
	v_add_f16_e32 v44, v44, v53
	v_mul_f16_e32 v53, 0x33a8, v39
	v_add_f16_e32 v51, v51, v54
	v_add_f16_e32 v50, v50, v55
	v_fma_f16 v54, v48, s3, v52
	v_fma_f16 v52, v48, s3, -v52
	v_fma_f16 v55, v47, s12, -v53
	v_fma_f16 v53, v47, s12, v53
	v_pack_b32_f16 v47, v49, v47
	s_mov_b32 s15, 0x388b3a95
	v_add_f16_e32 v52, v52, v56
	v_mul_f16_e32 v56, 0x33a8, v49
	v_pack_b32_f16 v39, v48, v39
	s_mov_b32 s14, 0x3a95388b
	v_pk_mul_f16 v47, v47, s15
	v_add_f16_e32 v54, v54, v58
	v_fma_f16 v58, v48, s12, v56
	v_add_f16_e32 v36, v53, v36
	v_fma_f16 v53, v48, s12, -v56
	v_pk_fma_f16 v48, v39, s14, v47 neg_lo:[1,0,0] neg_hi:[1,0,0]
	v_pk_add_f16 v45, v48, v45
	v_pk_fma_f16 v48, v39, s14, v47
	v_pk_fma_f16 v39, v39, s14, v47 neg_lo:[0,0,1] neg_hi:[0,0,1]
	v_pk_add_f16 v29, v39, v29
	v_fma_f16 v39, v18, s13, v72
	v_add_f16_e32 v35, v39, v35
	v_fma_f16 v39, v26, s13, -v73
	v_add_f16_e32 v37, v39, v37
	v_fma_f16 v39, v18, s3, v74
	v_add_f16_e32 v38, v39, v38
	v_fma_f16 v39, v26, s3, -v75
	v_add_f16_e32 v39, v39, v40
	v_mul_f16_e32 v40, 0xba95, v28
	v_fma_f16 v47, v18, s0, -v40
	v_add_f16_e32 v42, v47, v42
	v_mul_f16_e32 v47, 0xba95, v27
	v_fma_f16 v40, v18, s0, v40
	v_add_f16_e32 v40, v40, v41
	v_fma_f16 v41, v26, s0, -v47
	v_add_f16_e32 v41, v41, v43
	v_mul_f16_e32 v43, 0x33a8, v28
	v_pk_add_f16 v46, v48, v46
	v_fma_f16 v48, v26, s0, v47
	v_fma_f16 v47, v18, s12, -v43
	v_mul_f16_e32 v49, 0x33a8, v27
	v_fma_f16 v43, v18, s12, v43
	v_add_f16_e32 v47, v47, v50
	v_fma_f16 v50, v26, s12, v49
	v_add_f16_e32 v43, v43, v44
	v_fma_f16 v44, v26, s12, -v49
	v_mul_f16_e32 v49, 0x3770, v28
	v_add_f16_e32 v48, v48, v51
	v_add_f16_e32 v44, v44, v52
	v_fma_f16 v51, v18, s1, -v49
	v_mul_f16_e32 v52, 0x3770, v27
	v_fma_f16 v49, v18, s1, v49
	v_pack_b32_f16 v18, v27, v18
	s_mov_b32 s15, 0xb5acbb7b
	v_add_f16_e32 v50, v50, v54
	v_fma_f16 v54, v26, s1, v52
	v_add_f16_e32 v36, v49, v36
	v_fma_f16 v49, v26, s1, -v52
	v_pack_b32_f16 v26, v26, v28
	s_mov_b32 s14, 0xbb7bb5ac
	v_pk_mul_f16 v18, v18, s15
	v_pk_fma_f16 v27, v26, s14, v18 neg_lo:[1,0,0] neg_hi:[1,0,0]
	v_pk_fma_f16 v28, v26, s14, v18
	v_pk_fma_f16 v18, v26, s14, v18 neg_lo:[0,0,1] neg_hi:[0,0,1]
	v_fma_f16 v26, v30, s12, v76
	v_pk_add_f16 v18, v18, v29
	v_add_f16_e32 v26, v26, v35
	v_fma_f16 v29, v31, s12, -v77
	v_fma_f16 v35, v30, s1, v78
	v_add_f16_e32 v29, v29, v37
	v_add_f16_e32 v35, v35, v38
	v_fma_f16 v37, v31, s1, -v79
	v_mul_f16_e32 v38, 0xb94e, v33
	v_add_f16_e32 v37, v37, v39
	v_fma_f16 v39, v30, s13, -v38
	v_add_f16_e32 v39, v39, v42
	v_mul_f16_e32 v42, 0xb94e, v32
	v_fma_f16 v38, v30, s13, v38
	v_add_f16_e32 v38, v38, v40
	v_fma_f16 v40, v31, s13, -v42
	v_add_f16_e32 v40, v40, v41
	v_mul_f16_e32 v41, 0x3a95, v33
	v_pk_add_f16 v27, v27, v45
	v_pk_add_f16 v28, v28, v46
	v_fma_f16 v45, v31, s13, v42
	v_fma_f16 v42, v30, s0, -v41
	v_mul_f16_e32 v46, 0x3a95, v32
	v_fma_f16 v41, v30, s0, v41
	v_add_f16_e32 v41, v41, v43
	v_fma_f16 v43, v31, s0, -v46
	v_add_f16_e32 v43, v43, v44
	v_mul_f16_e32 v44, 0xbb7b, v33
	v_add_f16_e32 v45, v45, v48
	v_add_f16_e32 v42, v42, v47
	v_fma_f16 v47, v31, s0, v46
	v_fma_f16 v46, v30, s2, -v44
	v_mul_f16_e32 v48, 0xbb7b, v32
	v_fma_f16 v44, v30, s2, v44
	v_pack_b32_f16 v30, v32, v30
	s_mov_b32 s15, 0x2fb73bf1
	v_add_f16_e32 v61, v61, v83
	v_add_f16_e32 v47, v47, v50
	v_fma_f16 v50, v31, s2, v48
	v_add_f16_e32 v36, v44, v36
	v_fma_f16 v44, v31, s2, -v48
	v_pack_b32_f16 v31, v31, v33
	s_mov_b32 s14, 0x3bf12fb7
	v_pk_mul_f16 v30, v30, s15
	v_add_f16_e32 v57, v57, v61
	v_pk_fma_f16 v32, v31, s14, v30 neg_lo:[1,0,0] neg_hi:[1,0,0]
	v_add_f16_e32 v80, v80, v84
	v_add_f16_e32 v53, v53, v57
	v_pk_add_f16 v27, v32, v27
	v_pk_fma_f16 v32, v31, s14, v30
	v_pk_fma_f16 v30, v31, s14, v30 neg_lo:[0,0,1] neg_hi:[0,0,1]
	v_add_f16_e32 v62, v62, v80
	v_add_f16_e32 v49, v49, v53
	v_pk_add_f16 v28, v32, v28
	v_pk_add_f16 v18, v30, v18
	v_add_f16_e32 v55, v55, v59
	v_add_f16_e32 v58, v58, v62
	;; [unrolled: 1-line block ×3, first 2 shown]
	v_alignbit_b32 v18, v18, v28, 16
	v_alignbit_b32 v27, v28, v27, 16
	v_add_f16_e32 v51, v51, v55
	v_add_f16_e32 v54, v54, v58
	ds_write2_b32 v21, v27, v18 offset0:6 offset1:7
	v_pack_b32_f16 v18, v41, v43
	v_pack_b32_f16 v27, v36, v44
	v_add_f16_e32 v46, v46, v51
	v_add_f16_e32 v50, v50, v54
	v_pack_b32_f16 v30, v42, v47
	v_pack_b32_f16 v31, v39, v45
	ds_write2_b32 v21, v27, v18 offset0:8 offset1:9
	v_pack_b32_f16 v18, v35, v37
	v_pack_b32_f16 v27, v38, v40
	ds_write2_b32 v21, v31, v30 offset0:3 offset1:4
	v_pack_b32_f16 v30, v46, v50
	ds_write2_b32 v21, v27, v18 offset0:10 offset1:11
	v_pack_b32_f16 v18, v26, v29
	ds_write2_b32 v21, v34, v30 offset1:5
	ds_write_b32 v21, v18 offset:48
	s_waitcnt lgkmcnt(0)
	; wave barrier
	s_waitcnt lgkmcnt(0)
	global_load_dwordx4 v[26:29], v17, s[6:7] offset:64
	global_load_dwordx4 v[30:33], v17, s[6:7] offset:80
	ds_read2_b32 v[34:35], v21 offset1:1
	ds_read2_b32 v[36:37], v21 offset0:2 offset1:3
	ds_read2_b32 v[38:39], v21 offset0:4 offset1:5
	ds_read2_b32 v[40:41], v21 offset0:6 offset1:7
	s_mov_b32 s15, 0xba95
	s_waitcnt lgkmcnt(3)
	v_lshrrev_b32_e32 v42, 16, v34
	v_mul_f16_sdwa v18, v42, v1 dst_sel:DWORD dst_unused:UNUSED_PAD src0_sel:DWORD src1_sel:WORD_1
	v_fma_f16 v44, v34, v1, -v18
	global_load_dwordx2 v[17:18], v17, s[6:7] offset:96
	v_lshrrev_b32_e32 v43, 16, v35
	v_mul_f16_sdwa v34, v34, v1 dst_sel:DWORD dst_unused:UNUSED_PAD src0_sel:DWORD src1_sel:WORD_1
	v_fma_f16 v1, v42, v1, v34
	v_mul_f16_sdwa v34, v43, v2 dst_sel:DWORD dst_unused:UNUSED_PAD src0_sel:DWORD src1_sel:WORD_1
	v_fma_f16 v34, v35, v2, -v34
	v_mul_f16_sdwa v35, v35, v2 dst_sel:DWORD dst_unused:UNUSED_PAD src0_sel:DWORD src1_sel:WORD_1
	v_fma_f16 v2, v43, v2, v35
	v_pack_b32_f16 v2, v34, v2
	v_pack_b32_f16 v1, v44, v1
	ds_write2_b32 v21, v1, v2 offset1:1
	s_waitcnt lgkmcnt(3)
	v_lshrrev_b32_e32 v1, 16, v36
	v_lshrrev_b32_e32 v2, 16, v37
	v_mul_f16_sdwa v34, v1, v3 dst_sel:DWORD dst_unused:UNUSED_PAD src0_sel:DWORD src1_sel:WORD_1
	v_mul_f16_sdwa v35, v36, v3 dst_sel:DWORD dst_unused:UNUSED_PAD src0_sel:DWORD src1_sel:WORD_1
	v_fma_f16 v34, v36, v3, -v34
	v_fma_f16 v1, v1, v3, v35
	v_pack_b32_f16 v1, v34, v1
	s_mov_b32 s6, 0xbb7b
	s_movk_i32 s7, 0x3bf1
	s_movk_i32 s14, 0x3b7b
	s_waitcnt vmcnt(2)
	v_mul_f16_sdwa v3, v2, v26 dst_sel:DWORD dst_unused:UNUSED_PAD src0_sel:DWORD src1_sel:WORD_1
	v_mul_f16_sdwa v35, v37, v26 dst_sel:DWORD dst_unused:UNUSED_PAD src0_sel:DWORD src1_sel:WORD_1
	v_fma_f16 v3, v37, v26, -v3
	v_fma_f16 v2, v2, v26, v35
	v_pack_b32_f16 v2, v3, v2
	ds_write2_b32 v21, v1, v2 offset0:2 offset1:3
	s_waitcnt lgkmcnt(3)
	v_lshrrev_b32_e32 v1, 16, v38
	v_lshrrev_b32_e32 v2, 16, v39
	v_mul_f16_sdwa v3, v1, v27 dst_sel:DWORD dst_unused:UNUSED_PAD src0_sel:DWORD src1_sel:WORD_1
	v_mul_f16_sdwa v26, v38, v27 dst_sel:DWORD dst_unused:UNUSED_PAD src0_sel:DWORD src1_sel:WORD_1
	v_fma_f16 v3, v38, v27, -v3
	v_fma_f16 v1, v1, v27, v26
	v_mul_f16_sdwa v26, v2, v28 dst_sel:DWORD dst_unused:UNUSED_PAD src0_sel:DWORD src1_sel:WORD_1
	v_mul_f16_sdwa v27, v39, v28 dst_sel:DWORD dst_unused:UNUSED_PAD src0_sel:DWORD src1_sel:WORD_1
	v_fma_f16 v26, v39, v28, -v26
	v_fma_f16 v2, v2, v28, v27
	v_pack_b32_f16 v2, v26, v2
	v_pack_b32_f16 v1, v3, v1
	ds_write2_b32 v21, v1, v2 offset0:4 offset1:5
	s_waitcnt lgkmcnt(3)
	v_lshrrev_b32_e32 v1, 16, v40
	v_lshrrev_b32_e32 v2, 16, v41
	v_mul_f16_sdwa v26, v40, v29 dst_sel:DWORD dst_unused:UNUSED_PAD src0_sel:DWORD src1_sel:WORD_1
	v_mul_f16_sdwa v3, v1, v29 dst_sel:DWORD dst_unused:UNUSED_PAD src0_sel:DWORD src1_sel:WORD_1
	v_fma_f16 v26, v1, v29, v26
	s_waitcnt vmcnt(1)
	v_mul_f16_sdwa v1, v2, v30 dst_sel:DWORD dst_unused:UNUSED_PAD src0_sel:DWORD src1_sel:WORD_1
	v_mul_f16_sdwa v27, v41, v30 dst_sel:DWORD dst_unused:UNUSED_PAD src0_sel:DWORD src1_sel:WORD_1
	v_fma_f16 v1, v41, v30, -v1
	v_fma_f16 v2, v2, v30, v27
	v_pack_b32_f16 v27, v1, v2
	ds_read2_b32 v[1:2], v21 offset0:8 offset1:9
	v_fma_f16 v3, v40, v29, -v3
	v_pack_b32_f16 v3, v3, v26
	ds_write2_b32 v21, v3, v27 offset0:6 offset1:7
	ds_read2_b32 v[26:27], v21 offset0:10 offset1:11
	ds_read_b32 v3, v21 offset:48
	s_waitcnt lgkmcnt(3)
	v_lshrrev_b32_e32 v28, 16, v1
	v_mul_f16_sdwa v30, v28, v31 dst_sel:DWORD dst_unused:UNUSED_PAD src0_sel:DWORD src1_sel:WORD_1
	v_lshrrev_b32_e32 v29, 16, v2
	v_fma_f16 v30, v1, v31, -v30
	v_mul_f16_sdwa v1, v1, v31 dst_sel:DWORD dst_unused:UNUSED_PAD src0_sel:DWORD src1_sel:WORD_1
	v_fma_f16 v1, v28, v31, v1
	v_mul_f16_sdwa v28, v29, v32 dst_sel:DWORD dst_unused:UNUSED_PAD src0_sel:DWORD src1_sel:WORD_1
	v_fma_f16 v28, v2, v32, -v28
	v_mul_f16_sdwa v2, v2, v32 dst_sel:DWORD dst_unused:UNUSED_PAD src0_sel:DWORD src1_sel:WORD_1
	v_fma_f16 v2, v29, v32, v2
	v_pack_b32_f16 v2, v28, v2
	v_pack_b32_f16 v1, v30, v1
	ds_write2_b32 v21, v1, v2 offset0:8 offset1:9
	s_waitcnt lgkmcnt(2)
	v_lshrrev_b32_e32 v1, 16, v26
	v_mul_f16_sdwa v28, v1, v33 dst_sel:DWORD dst_unused:UNUSED_PAD src0_sel:DWORD src1_sel:WORD_1
	v_lshrrev_b32_e32 v2, 16, v27
	v_fma_f16 v28, v26, v33, -v28
	v_mul_f16_sdwa v26, v26, v33 dst_sel:DWORD dst_unused:UNUSED_PAD src0_sel:DWORD src1_sel:WORD_1
	v_fma_f16 v1, v1, v33, v26
	s_waitcnt vmcnt(0)
	v_mul_f16_sdwa v26, v2, v17 dst_sel:DWORD dst_unused:UNUSED_PAD src0_sel:DWORD src1_sel:WORD_1
	v_fma_f16 v26, v27, v17, -v26
	v_mul_f16_sdwa v27, v27, v17 dst_sel:DWORD dst_unused:UNUSED_PAD src0_sel:DWORD src1_sel:WORD_1
	v_fma_f16 v2, v2, v17, v27
	v_pack_b32_f16 v2, v26, v2
	v_pack_b32_f16 v1, v28, v1
	ds_write2_b32 v21, v1, v2 offset0:10 offset1:11
	s_waitcnt lgkmcnt(2)
	v_lshrrev_b32_e32 v1, 16, v3
	v_mul_f16_sdwa v2, v1, v18 dst_sel:DWORD dst_unused:UNUSED_PAD src0_sel:DWORD src1_sel:WORD_1
	v_fma_f16 v2, v3, v18, -v2
	v_mul_f16_sdwa v3, v3, v18 dst_sel:DWORD dst_unused:UNUSED_PAD src0_sel:DWORD src1_sel:WORD_1
	v_fma_f16 v1, v1, v18, v3
	v_pack_b32_f16 v1, v2, v1
	ds_write_b32 v21, v1 offset:48
	s_waitcnt lgkmcnt(0)
	; wave barrier
	s_waitcnt lgkmcnt(0)
	ds_read_b32 v1, v21 offset:48
	ds_read2_b32 v[2:3], v21 offset0:1 offset1:2
	ds_read2_b32 v[17:18], v21 offset0:3 offset1:4
	;; [unrolled: 1-line block ×5, first 2 shown]
	s_waitcnt lgkmcnt(2)
	v_pk_add_f16 v57, v27, v3
	v_pk_add_f16 v35, v2, v1 neg_lo:[0,1] neg_hi:[0,1]
	v_pk_add_f16 v34, v1, v2
	v_mul_f16_sdwa v32, v35, s20 dst_sel:DWORD dst_unused:UNUSED_PAD src0_sel:WORD_1 src1_sel:DWORD
	v_fma_f16 v36, v34, s1, v32
	v_fma_f16 v38, v34, s1, -v32
	v_mul_f16_sdwa v32, v35, s15 dst_sel:DWORD dst_unused:UNUSED_PAD src0_sel:WORD_1 src1_sel:DWORD
	v_fma_f16 v40, v34, s0, v32
	v_fma_f16 v42, v34, s0, -v32
	;; [unrolled: 3-line block ×3, first 2 shown]
	v_mul_f16_sdwa v32, v34, s3 dst_sel:DWORD dst_unused:UNUSED_PAD src0_sel:WORD_1 src1_sel:DWORD
	v_fma_f16 v46, v35, s7, v32
	v_fma_f16 v47, v35, s21, v32
	v_mul_f16_sdwa v32, v35, s6 dst_sel:DWORD dst_unused:UNUSED_PAD src0_sel:WORD_1 src1_sel:DWORD
	v_mul_f16_sdwa v33, v34, s1 dst_sel:DWORD dst_unused:UNUSED_PAD src0_sel:WORD_1 src1_sel:DWORD
	v_fma_f16 v48, v34, s2, v32
	v_fma_f16 v49, v34, s2, -v32
	v_mul_f16_sdwa v32, v34, s2 dst_sel:DWORD dst_unused:UNUSED_PAD src0_sel:WORD_1 src1_sel:DWORD
	v_fma_f16 v37, v35, s19, v33
	v_fma_f16 v39, v35, s20, v33
	v_mul_f16_sdwa v33, v34, s0 dst_sel:DWORD dst_unused:UNUSED_PAD src0_sel:WORD_1 src1_sel:DWORD
	v_fma_f16 v50, v35, s14, v32
	v_fma_f16 v51, v35, s6, v32
	;; [unrolled: 3-line block ×3, first 2 shown]
	v_fma_f16 v52, v34, s13, v32
	v_fma_f16 v53, v34, s13, -v32
	ds_read2_b32 v[32:33], v21 offset1:5
	v_mul_f16_sdwa v54, v34, s13 dst_sel:DWORD dst_unused:UNUSED_PAD src0_sel:WORD_1 src1_sel:DWORD
	v_pk_mul_f16 v34, v34, s12 op_sel_hi:[1,0]
	v_fma_f16 v55, v35, s17, v54
	v_fma_f16 v54, v35, s16, v54
	v_pk_fma_f16 v56, v35, s18, v34 op_sel:[0,0,1] op_sel_hi:[1,0,0]
	v_pk_fma_f16 v34, v35, s18, v34 op_sel:[0,0,1] op_sel_hi:[1,0,0] neg_lo:[1,0,0] neg_hi:[1,0,0]
	s_waitcnt lgkmcnt(0)
	v_add_f16_e32 v35, v2, v32
	v_add_f16_sdwa v2, v2, v32 dst_sel:DWORD dst_unused:UNUSED_PAD src0_sel:WORD_1 src1_sel:WORD_1
	v_add_f16_e32 v35, v35, v3
	v_add_f16_sdwa v2, v2, v3 dst_sel:DWORD dst_unused:UNUSED_PAD src0_sel:DWORD src1_sel:WORD_1
	v_add_f16_e32 v35, v35, v17
	v_add_f16_sdwa v2, v2, v17 dst_sel:DWORD dst_unused:UNUSED_PAD src0_sel:DWORD src1_sel:WORD_1
	;; [unrolled: 2-line block ×8, first 2 shown]
	v_pk_add_f16 v3, v3, v27 neg_lo:[0,1] neg_hi:[0,1]
	v_add_f16_e32 v35, v35, v26
	v_add_f16_sdwa v2, v2, v26 dst_sel:DWORD dst_unused:UNUSED_PAD src0_sel:DWORD src1_sel:WORD_1
	v_add_f16_e32 v35, v35, v27
	v_add_f16_sdwa v2, v2, v27 dst_sel:DWORD dst_unused:UNUSED_PAD src0_sel:DWORD src1_sel:WORD_1
	v_pk_add_f16 v27, v26, v17
	v_pk_add_f16 v17, v17, v26 neg_lo:[0,1] neg_hi:[0,1]
	v_pk_add_f16 v26, v29, v18
	v_pk_add_f16 v18, v18, v29 neg_lo:[0,1] neg_hi:[0,1]
	;; [unrolled: 2-line block ×3, first 2 shown]
	v_add_f16_e32 v33, v36, v32
	v_add_f16_sdwa v36, v37, v32 dst_sel:DWORD dst_unused:UNUSED_PAD src0_sel:DWORD src1_sel:WORD_1
	v_add_f16_e32 v37, v38, v32
	v_add_f16_sdwa v38, v39, v32 dst_sel:DWORD dst_unused:UNUSED_PAD src0_sel:DWORD src1_sel:WORD_1
	;; [unrolled: 2-line block ×10, first 2 shown]
	v_pk_add_f16 v55, v56, v32 op_sel:[0,1] op_sel_hi:[1,0]
	v_pk_add_f16 v32, v34, v32 op_sel:[0,1] op_sel_hi:[1,0]
	v_mul_f16_sdwa v34, v3, s15 dst_sel:DWORD dst_unused:UNUSED_PAD src0_sel:WORD_1 src1_sel:DWORD
	v_fma_f16 v56, v57, s0, v34
	v_add_f16_e32 v33, v56, v33
	v_mul_f16_sdwa v56, v57, s0 dst_sel:DWORD dst_unused:UNUSED_PAD src0_sel:WORD_1 src1_sel:DWORD
	v_fma_f16 v58, v3, s22, v56
	v_add_f16_e32 v36, v58, v36
	;; [unrolled: 3-line block ×16, first 2 shown]
	v_alignbit_b32 v72, v31, v30, 16
	v_alignbit_b32 v73, v30, v31, 16
	v_pk_add_f16 v72, v72, v73
	v_pk_add_f16 v30, v30, v31 neg_lo:[0,1] neg_hi:[0,1]
	v_lshrrev_b32_e32 v31, 16, v72
	v_mul_f16_sdwa v73, v30, s18 dst_sel:DWORD dst_unused:UNUSED_PAD src0_sel:WORD_1 src1_sel:DWORD
	v_fma_f16 v74, v31, s12, v73
	v_add_f16_e32 v33, v74, v33
	v_mul_f16_e32 v74, 0xbbc4, v72
	v_fma_f16 v75, v30, s23, v74
	v_add_f16_e32 v36, v75, v36
	v_mul_f16_sdwa v75, v30, s19 dst_sel:DWORD dst_unused:UNUSED_PAD src0_sel:WORD_1 src1_sel:DWORD
	v_fma_f16 v76, v31, s1, v75
	v_add_f16_e32 v39, v76, v39
	v_mul_f16_e32 v76, 0x3b15, v72
	v_fma_f16 v77, v30, s20, v76
	v_add_f16_e32 v40, v77, v40
	v_pack_b32_f16 v39, v39, v40
	v_pack_b32_f16 v33, v33, v36
	ds_write2_b32 v21, v33, v39 offset0:1 offset1:2
	v_add_f16_e32 v33, v35, v1
	v_add_f16_sdwa v1, v2, v1 dst_sel:WORD_1 dst_unused:UNUSED_PAD src0_sel:DWORD src1_sel:WORD_1
	v_or_b32_e32 v1, v1, v33
	v_fma_f16 v2, v57, s0, -v34
	v_fma_f16 v33, v3, s15, v56
	v_fma_f16 v35, v3, s6, v59
	v_mul_f16_sdwa v36, v3, s18 dst_sel:DWORD dst_unused:UNUSED_PAD src0_sel:WORD_1 src1_sel:DWORD
	v_add_f16_e32 v2, v2, v37
	v_add_f16_e32 v33, v33, v38
	;; [unrolled: 1-line block ×3, first 2 shown]
	v_fma_f16 v37, v57, s12, v36
	v_mul_f16_sdwa v38, v57, s12 dst_sel:DWORD dst_unused:UNUSED_PAD src0_sel:WORD_1 src1_sel:DWORD
	v_mul_f16_sdwa v42, v57, s13 dst_sel:DWORD dst_unused:UNUSED_PAD src0_sel:WORD_1 src1_sel:DWORD
	v_fma_f16 v34, v57, s2, -v58
	v_add_f16_e32 v37, v37, v43
	v_fma_f16 v39, v3, s23, v38
	v_fma_f16 v38, v3, s18, v38
	v_mul_f16_sdwa v40, v3, s17 dst_sel:DWORD dst_unused:UNUSED_PAD src0_sel:WORD_1 src1_sel:DWORD
	v_fma_f16 v43, v3, s16, v42
	v_add_f16_e32 v34, v34, v41
	v_add_f16_e32 v38, v38, v46
	v_fma_f16 v41, v57, s13, v40
	v_add_f16_e32 v43, v43, v48
	v_fma_f16 v40, v57, s13, -v40
	v_mul_f16_sdwa v46, v57, s3 dst_sel:DWORD dst_unused:UNUSED_PAD src0_sel:WORD_1 src1_sel:DWORD
	v_pk_mul_f16 v48, v57, s1 op_sel_hi:[1,0]
	v_add_f16_e32 v39, v39, v44
	v_add_f16_e32 v41, v41, v47
	;; [unrolled: 1-line block ×3, first 2 shown]
	v_fma_f16 v42, v3, s17, v42
	v_mul_f16_sdwa v44, v3, s7 dst_sel:DWORD dst_unused:UNUSED_PAD src0_sel:WORD_1 src1_sel:DWORD
	v_fma_f16 v47, v3, s21, v46
	v_fma_f16 v46, v3, s7, v46
	v_pk_fma_f16 v49, v3, s19, v48 op_sel:[0,0,1] op_sel_hi:[1,0,0]
	v_pk_fma_f16 v3, v3, s19, v48 op_sel:[0,0,1] op_sel_hi:[1,0,0] neg_lo:[1,0,0] neg_hi:[1,0,0]
	v_pk_add_f16 v3, v3, v32
	v_fma_f16 v32, v27, s3, -v60
	v_add_f16_e32 v2, v32, v2
	v_fma_f16 v32, v17, s21, v61
	v_add_f16_e32 v32, v32, v33
	v_fma_f16 v33, v27, s12, -v62
	v_add_f16_e32 v33, v33, v34
	v_fma_f16 v34, v17, s18, v63
	v_add_f16_e32 v34, v34, v35
	v_mul_f16_sdwa v35, v17, s14 dst_sel:DWORD dst_unused:UNUSED_PAD src0_sel:WORD_1 src1_sel:DWORD
	v_fma_f16 v36, v57, s12, -v36
	v_fma_f16 v48, v27, s2, v35
	v_add_f16_e32 v36, v36, v45
	v_add_f16_e32 v37, v48, v37
	v_mul_f16_sdwa v48, v27, s2 dst_sel:DWORD dst_unused:UNUSED_PAD src0_sel:WORD_1 src1_sel:DWORD
	v_fma_f16 v35, v27, s2, -v35
	v_add_f16_e32 v35, v35, v36
	v_fma_f16 v36, v17, s14, v48
	v_add_f16_e32 v36, v36, v38
	v_mul_f16_sdwa v38, v17, s19 dst_sel:DWORD dst_unused:UNUSED_PAD src0_sel:WORD_1 src1_sel:DWORD
	v_add_f16_e32 v42, v42, v50
	v_fma_f16 v50, v17, s6, v48
	v_fma_f16 v48, v27, s1, v38
	v_add_f16_e32 v41, v48, v41
	v_mul_f16_sdwa v48, v27, s1 dst_sel:DWORD dst_unused:UNUSED_PAD src0_sel:WORD_1 src1_sel:DWORD
	v_fma_f16 v38, v27, s1, -v38
	v_add_f16_e32 v38, v38, v40
	v_fma_f16 v40, v17, s19, v48
	v_fma_f16 v45, v57, s3, v44
	v_add_f16_e32 v40, v40, v42
	v_mul_f16_sdwa v42, v17, s15 dst_sel:DWORD dst_unused:UNUSED_PAD src0_sel:WORD_1 src1_sel:DWORD
	v_add_f16_e32 v45, v45, v51
	v_fma_f16 v44, v57, s3, -v44
	v_add_f16_e32 v39, v50, v39
	v_fma_f16 v50, v17, s20, v48
	v_fma_f16 v48, v27, s0, v42
	v_add_f16_e32 v44, v44, v53
	v_add_f16_e32 v45, v48, v45
	v_mul_f16_sdwa v48, v27, s0 dst_sel:DWORD dst_unused:UNUSED_PAD src0_sel:WORD_1 src1_sel:DWORD
	v_fma_f16 v42, v27, s0, -v42
	v_add_f16_e32 v46, v46, v54
	v_add_f16_e32 v42, v42, v44
	v_fma_f16 v44, v17, s15, v48
	v_pk_mul_f16 v27, v27, s13 op_sel_hi:[1,0]
	v_add_f16_e32 v43, v50, v43
	v_fma_f16 v50, v17, s22, v48
	v_add_f16_e32 v44, v44, v46
	v_pk_fma_f16 v46, v17, s16, v27 op_sel:[0,0,1] op_sel_hi:[1,0,0]
	v_pk_fma_f16 v17, v17, s16, v27 op_sel:[0,0,1] op_sel_hi:[1,0,0] neg_lo:[1,0,0] neg_hi:[1,0,0]
	v_pk_add_f16 v3, v17, v3
	v_fma_f16 v17, v26, s2, -v64
	v_add_f16_e32 v2, v17, v2
	v_fma_f16 v17, v18, s6, v65
	v_fma_f16 v27, v26, s13, -v66
	v_add_f16_e32 v17, v17, v32
	v_add_f16_e32 v27, v27, v33
	v_fma_f16 v32, v18, s17, v67
	v_mul_f16_sdwa v33, v18, s19 dst_sel:DWORD dst_unused:UNUSED_PAD src0_sel:WORD_1 src1_sel:DWORD
	v_add_f16_e32 v32, v32, v34
	v_fma_f16 v34, v26, s1, v33
	v_add_f16_e32 v34, v34, v37
	v_mul_f16_sdwa v37, v26, s1 dst_sel:DWORD dst_unused:UNUSED_PAD src0_sel:WORD_1 src1_sel:DWORD
	v_fma_f16 v33, v26, s1, -v33
	v_add_f16_e32 v33, v33, v35
	v_fma_f16 v35, v18, s19, v37
	v_add_f16_e32 v35, v35, v36
	v_mul_f16_sdwa v36, v18, s21 dst_sel:DWORD dst_unused:UNUSED_PAD src0_sel:WORD_1 src1_sel:DWORD
	v_fma_f16 v48, v18, s20, v37
	v_fma_f16 v37, v26, s3, v36
	v_add_f16_e32 v37, v37, v41
	v_mul_f16_sdwa v41, v26, s3 dst_sel:DWORD dst_unused:UNUSED_PAD src0_sel:WORD_1 src1_sel:DWORD
	v_fma_f16 v36, v26, s3, -v36
	v_add_f16_e32 v36, v36, v38
	v_fma_f16 v38, v18, s21, v41
	v_add_f16_e32 v38, v38, v40
	v_mul_f16_sdwa v40, v18, s23 dst_sel:DWORD dst_unused:UNUSED_PAD src0_sel:WORD_1 src1_sel:DWORD
	v_add_f16_e32 v39, v48, v39
	v_fma_f16 v48, v18, s7, v41
	v_fma_f16 v41, v26, s12, v40
	v_add_f16_e32 v41, v41, v45
	v_mul_f16_sdwa v45, v26, s12 dst_sel:DWORD dst_unused:UNUSED_PAD src0_sel:WORD_1 src1_sel:DWORD
	v_fma_f16 v40, v26, s12, -v40
	v_add_f16_e32 v40, v40, v42
	v_fma_f16 v42, v18, s23, v45
	v_pk_mul_f16 v26, v26, s0 op_sel_hi:[1,0]
	v_add_f16_e32 v43, v48, v43
	v_fma_f16 v48, v18, s18, v45
	v_add_f16_e32 v42, v42, v44
	v_pk_fma_f16 v44, v18, s22, v26 op_sel:[0,0,1] op_sel_hi:[1,0,0]
	v_pk_fma_f16 v18, v18, s22, v26 op_sel:[0,0,1] op_sel_hi:[1,0,0] neg_lo:[1,0,0] neg_hi:[1,0,0]
	v_pk_add_f16 v3, v18, v3
	v_fma_f16 v18, v29, s13, -v68
	v_add_f16_e32 v2, v18, v2
	v_fma_f16 v18, v28, s16, v69
	v_add_f16_e32 v17, v18, v17
	v_fma_f16 v18, v29, s3, -v70
	v_add_f16_e32 v18, v18, v27
	v_fma_f16 v26, v28, s7, v71
	v_mul_f16_sdwa v27, v28, s15 dst_sel:DWORD dst_unused:UNUSED_PAD src0_sel:WORD_1 src1_sel:DWORD
	v_add_f16_e32 v26, v26, v32
	v_fma_f16 v32, v29, s0, v27
	v_add_f16_e32 v32, v32, v34
	v_mul_f16_sdwa v34, v29, s0 dst_sel:DWORD dst_unused:UNUSED_PAD src0_sel:WORD_1 src1_sel:DWORD
	v_fma_f16 v27, v29, s0, -v27
	v_fma_f16 v45, v28, s22, v34
	v_add_f16_e32 v27, v27, v33
	v_fma_f16 v33, v28, s15, v34
	v_mul_f16_sdwa v34, v28, s23 dst_sel:DWORD dst_unused:UNUSED_PAD src0_sel:WORD_1 src1_sel:DWORD
	v_add_f16_e32 v33, v33, v35
	v_fma_f16 v35, v29, s12, v34
	v_add_f16_e32 v35, v35, v37
	v_mul_f16_sdwa v37, v29, s12 dst_sel:DWORD dst_unused:UNUSED_PAD src0_sel:WORD_1 src1_sel:DWORD
	v_fma_f16 v34, v29, s12, -v34
	v_add_f16_e32 v39, v45, v39
	v_fma_f16 v45, v28, s18, v37
	v_add_f16_e32 v34, v34, v36
	v_fma_f16 v36, v28, s23, v37
	v_mul_f16_sdwa v37, v28, s19 dst_sel:DWORD dst_unused:UNUSED_PAD src0_sel:WORD_1 src1_sel:DWORD
	v_add_f16_e32 v36, v36, v38
	v_fma_f16 v38, v29, s1, v37
	v_add_f16_e32 v38, v38, v41
	v_mul_f16_sdwa v41, v29, s1 dst_sel:DWORD dst_unused:UNUSED_PAD src0_sel:WORD_1 src1_sel:DWORD
	v_fma_f16 v37, v29, s1, -v37
	v_pk_mul_f16 v29, v29, s2 op_sel_hi:[1,0]
	v_add_f16_e32 v43, v45, v43
	v_fma_f16 v45, v28, s20, v41
	v_add_f16_e32 v37, v37, v40
	v_fma_f16 v40, v28, s19, v41
	v_pk_fma_f16 v41, v28, s6, v29 op_sel:[0,0,1] op_sel_hi:[1,0,0]
	v_pk_fma_f16 v28, v28, s6, v29 op_sel:[0,0,1] op_sel_hi:[1,0,0] neg_lo:[1,0,0] neg_hi:[1,0,0]
	v_pk_add_f16 v3, v28, v3
	v_fma_f16 v28, v31, s12, -v73
	v_add_f16_e32 v2, v28, v2
	v_fma_f16 v28, v30, s18, v74
	v_add_f16_e32 v17, v28, v17
	v_fma_f16 v28, v31, s1, -v75
	v_add_f16_e32 v18, v28, v18
	v_fma_f16 v28, v30, s19, v76
	v_add_f16_e32 v26, v28, v26
	v_mul_f16_sdwa v28, v30, s16 dst_sel:DWORD dst_unused:UNUSED_PAD src0_sel:WORD_1 src1_sel:DWORD
	v_fma_f16 v29, v31, s13, v28
	v_add_f16_e32 v29, v29, v32
	v_mul_f16_e32 v32, 0xb9fd, v72
	v_fma_f16 v28, v31, s13, -v28
	v_add_f16_e32 v40, v40, v42
	v_fma_f16 v42, v30, s17, v32
	v_add_f16_e32 v27, v28, v27
	v_fma_f16 v28, v30, s16, v32
	v_mul_f16_sdwa v32, v30, s22 dst_sel:DWORD dst_unused:UNUSED_PAD src0_sel:WORD_1 src1_sel:DWORD
	v_add_f16_e32 v28, v28, v33
	v_fma_f16 v33, v31, s0, v32
	v_add_f16_e32 v33, v33, v35
	v_mul_f16_e32 v35, 0x388b, v72
	v_fma_f16 v32, v31, s0, -v32
	v_add_f16_e32 v39, v42, v39
	v_fma_f16 v42, v30, s15, v35
	v_add_f16_e32 v32, v32, v34
	v_fma_f16 v34, v30, s22, v35
	v_mul_f16_sdwa v35, v30, s6 dst_sel:DWORD dst_unused:UNUSED_PAD src0_sel:WORD_1 src1_sel:DWORD
	v_add_f16_e32 v47, v47, v52
	v_add_f16_e32 v34, v34, v36
	v_fma_f16 v36, v31, s2, v35
	v_pk_add_f16 v49, v49, v55
	v_add_f16_e32 v47, v50, v47
	v_add_f16_e32 v36, v36, v38
	v_mul_f16_e32 v38, 0xb5ac, v72
	v_pk_add_f16 v46, v46, v49
	v_add_f16_e32 v47, v48, v47
	v_add_f16_e32 v42, v42, v43
	v_fma_f16 v43, v30, s14, v38
	v_fma_f16 v31, v31, s2, -v35
	v_fma_f16 v35, v30, s6, v38
	v_pk_mul_f16 v30, v30, s7 op_sel_hi:[1,0]
	v_pk_add_f16 v44, v44, v46
	v_add_f16_e32 v45, v45, v47
	v_add_f16_e32 v31, v31, v37
	v_pk_fma_f16 v37, v72, s3, v30 op_sel_hi:[1,0,1]
	v_pk_fma_f16 v30, v72, s3, v30 op_sel_hi:[1,0,1] neg_lo:[0,0,1] neg_hi:[0,0,1]
	v_pk_add_f16 v41, v41, v44
	v_add_f16_e32 v43, v43, v45
	v_pk_add_f16 v3, v30, v3
	v_pack_b32_f16 v30, v33, v42
	v_pack_b32_f16 v29, v29, v39
	v_pk_add_f16 v37, v37, v41
	ds_write2_b32 v21, v29, v30 offset0:3 offset1:4
	v_pack_b32_f16 v29, v36, v43
	v_add_f16_e32 v35, v35, v40
	ds_write2_b32 v21, v1, v29 offset1:5
	v_alignbit_b32 v1, v37, v3, 16
	v_alignbit_b32 v3, v3, v37, 16
	ds_write2_b32 v21, v3, v1 offset0:6 offset1:7
	v_pack_b32_f16 v1, v32, v34
	v_pack_b32_f16 v3, v31, v35
	ds_write2_b32 v21, v3, v1 offset0:8 offset1:9
	v_pack_b32_f16 v1, v18, v26
	v_pack_b32_f16 v3, v27, v28
	ds_write2_b32 v21, v3, v1 offset0:10 offset1:11
	v_pack_b32_f16 v1, v2, v17
	ds_write_b32 v21, v1 offset:48
	s_waitcnt lgkmcnt(0)
	; wave barrier
	s_waitcnt lgkmcnt(0)
	ds_read2_b32 v[2:3], v21 offset1:1
	ds_read2_b32 v[26:27], v21 offset0:2 offset1:3
	ds_read2_b32 v[28:29], v21 offset0:4 offset1:5
	;; [unrolled: 1-line block ×3, first 2 shown]
	s_mov_b32 s2, 0x13b13b14
	s_waitcnt lgkmcnt(3)
	v_lshrrev_b32_e32 v36, 16, v2
	v_mul_f16_sdwa v1, v12, v36 dst_sel:DWORD dst_unused:UNUSED_PAD src0_sel:WORD_1 src1_sel:DWORD
	v_fma_f16 v1, v12, v2, v1
	v_cvt_f32_f16_e32 v1, v1
	s_mov_b32 s3, 0x3fb3b13b
	v_mad_u64_u32 v[30:31], s[0:1], s10, v16, 0
	v_cvt_f64_f32_e32 v[32:33], v1
	s_movk_i32 s7, 0xffe
	v_mov_b32_e32 v1, v31
	v_mad_u64_u32 v[34:35], s[0:1], s11, v16, v[1:2]
	v_mul_f64 v[32:33], v[32:33], s[2:3]
	s_load_dwordx2 s[10:11], s[4:5], 0x38
	s_movk_i32 s5, 0x1ff
	v_mov_b32_e32 v31, v34
	v_mul_f16_sdwa v2, v12, v2 dst_sel:DWORD dst_unused:UNUSED_PAD src0_sel:WORD_1 src1_sel:DWORD
	v_fma_f16 v2, v12, v36, -v2
	v_cvt_f32_f16_e32 v2, v2
	v_mov_b32_e32 v12, 0x7c00
	v_and_or_b32 v1, v33, s5, v32
	v_cmp_ne_u32_e32 vcc, 0, v1
	v_cndmask_b32_e64 v1, 0, 1, vcc
	v_lshrrev_b32_e32 v32, 8, v33
	v_bfe_u32 v34, v33, 20, 11
	v_and_or_b32 v32, v32, s7, v1
	v_sub_u32_e32 v35, 0x3f1, v34
	v_or_b32_e32 v1, 0x1000, v32
	v_med3_i32 v35, v35, 0, 13
	v_lshrrev_b32_e32 v37, v35, v1
	v_lshlrev_b32_e32 v35, v35, v37
	v_cmp_ne_u32_e32 vcc, v35, v1
	v_cndmask_b32_e64 v1, 0, 1, vcc
	v_add_u32_e32 v34, 0xfffffc10, v34
	v_or_b32_e32 v1, v37, v1
	v_lshl_or_b32 v35, v34, 12, v32
	v_cmp_gt_i32_e32 vcc, 1, v34
	v_cndmask_b32_e32 v1, v35, v1, vcc
	v_and_b32_e32 v35, 7, v1
	v_cmp_lt_i32_e32 vcc, 5, v35
	v_cmp_eq_u32_e64 s[0:1], 3, v35
	v_lshrrev_b32_e32 v1, 2, v1
	s_or_b64 vcc, s[0:1], vcc
	v_addc_co_u32_e32 v35, vcc, 0, v1, vcc
	v_cvt_f64_f32_e32 v[1:2], v2
	v_cmp_gt_i32_e32 vcc, 31, v34
	v_cndmask_b32_e32 v35, v12, v35, vcc
	v_cmp_ne_u32_e32 vcc, 0, v32
	v_mul_f64 v[1:2], v[1:2], s[2:3]
	v_cndmask_b32_e64 v32, 0, 1, vcc
	s_movk_i32 s6, 0x40f
	v_lshl_or_b32 v32, v32, 9, v12
	v_cmp_eq_u32_e32 vcc, s6, v34
	v_cndmask_b32_e32 v32, v35, v32, vcc
	v_lshrrev_b32_e32 v33, 16, v33
	s_mov_b32 s4, 0x8000
	v_and_or_b32 v1, v2, s5, v1
	v_cmp_ne_u32_e32 vcc, 0, v1
	v_and_or_b32 v32, v33, s4, v32
	v_cndmask_b32_e64 v1, 0, 1, vcc
	v_lshrrev_b32_e32 v33, 8, v2
	v_bfe_u32 v34, v2, 20, 11
	v_and_or_b32 v1, v33, s7, v1
	v_sub_u32_e32 v35, 0x3f1, v34
	v_or_b32_e32 v33, 0x1000, v1
	v_med3_i32 v35, v35, 0, 13
	v_lshrrev_b32_e32 v36, v35, v33
	v_lshlrev_b32_e32 v35, v35, v36
	v_cmp_ne_u32_e32 vcc, v35, v33
	v_cndmask_b32_e64 v33, 0, 1, vcc
	v_add_u32_e32 v34, 0xfffffc10, v34
	v_or_b32_e32 v33, v36, v33
	v_lshl_or_b32 v35, v34, 12, v1
	v_cmp_gt_i32_e32 vcc, 1, v34
	v_cndmask_b32_e32 v33, v35, v33, vcc
	v_and_b32_e32 v35, 7, v33
	v_lshrrev_b32_e32 v16, 16, v3
	v_cmp_lt_i32_e32 vcc, 5, v35
	v_cmp_eq_u32_e64 s[0:1], 3, v35
	v_lshrrev_b32_e32 v33, 2, v33
	s_or_b64 vcc, s[0:1], vcc
	v_mul_f16_e32 v35, v25, v16
	v_addc_co_u32_e32 v33, vcc, 0, v33, vcc
	v_fma_f16 v35, v13, v3, v35
	v_cmp_gt_i32_e32 vcc, 31, v34
	v_cvt_f32_f16_e32 v35, v35
	v_cndmask_b32_e32 v33, v12, v33, vcc
	v_cmp_ne_u32_e32 vcc, 0, v1
	v_cndmask_b32_e64 v1, 0, 1, vcc
	v_lshl_or_b32 v1, v1, 9, v12
	v_cmp_eq_u32_e32 vcc, s6, v34
	v_cndmask_b32_e32 v33, v33, v1, vcc
	v_lshrrev_b32_e32 v34, 16, v2
	v_cvt_f64_f32_e32 v[1:2], v35
	v_and_or_b32 v33, v34, s4, v33
	v_and_b32_e32 v32, 0xffff, v32
	v_lshl_or_b32 v34, v33, 16, v32
	v_mul_f64 v[32:33], v[1:2], s[2:3]
	v_lshlrev_b64 v[1:2], 2, v[30:31]
	s_waitcnt lgkmcnt(0)
	v_mov_b32_e32 v30, s11
	v_add_co_u32_e32 v1, vcc, s10, v1
	v_addc_co_u32_e32 v2, vcc, v30, v2, vcc
	global_store_dword v[1:2], v34, off
	v_and_or_b32 v30, v33, s5, v32
	v_cmp_ne_u32_e32 vcc, 0, v30
	v_cndmask_b32_e64 v30, 0, 1, vcc
	v_lshrrev_b32_e32 v31, 8, v33
	v_and_or_b32 v32, v31, s7, v30
	v_bfe_u32 v31, v33, 20, 11
	v_sub_u32_e32 v34, 0x3f1, v31
	v_or_b32_e32 v30, 0x1000, v32
	v_med3_i32 v34, v34, 0, 13
	v_lshrrev_b32_e32 v35, v34, v30
	v_lshlrev_b32_e32 v34, v34, v35
	v_mul_f16_e32 v3, v25, v3
	v_cmp_ne_u32_e32 vcc, v34, v30
	v_fma_f16 v3, v13, v16, -v3
	v_cndmask_b32_e64 v30, 0, 1, vcc
	v_add_u32_e32 v34, 0xfffffc10, v31
	v_cvt_f32_f16_e32 v3, v3
	v_or_b32_e32 v30, v35, v30
	v_lshl_or_b32 v31, v34, 12, v32
	v_cmp_gt_i32_e32 vcc, 1, v34
	v_cndmask_b32_e32 v30, v31, v30, vcc
	v_and_b32_e32 v31, 7, v30
	v_cmp_lt_i32_e32 vcc, 5, v31
	v_cmp_eq_u32_e64 s[0:1], 3, v31
	v_lshrrev_b32_e32 v13, 2, v30
	v_cvt_f64_f32_e32 v[30:31], v3
	s_or_b64 vcc, s[0:1], vcc
	v_addc_co_u32_e32 v3, vcc, 0, v13, vcc
	v_mul_f64 v[30:31], v[30:31], s[2:3]
	v_cmp_gt_i32_e32 vcc, 31, v34
	v_cndmask_b32_e32 v3, v12, v3, vcc
	v_cmp_ne_u32_e32 vcc, 0, v32
	v_cndmask_b32_e64 v13, 0, 1, vcc
	v_lshl_or_b32 v13, v13, 9, v12
	v_cmp_eq_u32_e32 vcc, s6, v34
	v_cndmask_b32_e32 v3, v3, v13, vcc
	v_lshrrev_b32_e32 v13, 16, v33
	v_and_or_b32 v3, v13, s4, v3
	v_and_or_b32 v13, v31, s5, v30
	v_cmp_ne_u32_e32 vcc, 0, v13
	v_cndmask_b32_e64 v13, 0, 1, vcc
	v_lshrrev_b32_e32 v16, 8, v31
	v_bfe_u32 v25, v31, 20, 11
	v_and_or_b32 v13, v16, s7, v13
	v_sub_u32_e32 v30, 0x3f1, v25
	v_or_b32_e32 v16, 0x1000, v13
	v_med3_i32 v30, v30, 0, 13
	v_lshrrev_b32_e32 v32, v30, v16
	v_lshlrev_b32_e32 v30, v30, v32
	v_cmp_ne_u32_e32 vcc, v30, v16
	v_cndmask_b32_e64 v16, 0, 1, vcc
	v_add_u32_e32 v25, 0xfffffc10, v25
	v_or_b32_e32 v16, v32, v16
	v_lshl_or_b32 v30, v25, 12, v13
	v_cmp_gt_i32_e32 vcc, 1, v25
	v_cndmask_b32_e32 v16, v30, v16, vcc
	v_and_b32_e32 v30, 7, v16
	v_cmp_lt_i32_e32 vcc, 5, v30
	v_cmp_eq_u32_e64 s[0:1], 3, v30
	v_lshrrev_b32_e32 v34, 16, v26
	v_lshrrev_b32_e32 v16, 2, v16
	s_or_b64 vcc, s[0:1], vcc
	v_mul_f16_sdwa v30, v14, v34 dst_sel:DWORD dst_unused:UNUSED_PAD src0_sel:WORD_1 src1_sel:DWORD
	v_addc_co_u32_e32 v16, vcc, 0, v16, vcc
	v_fma_f16 v30, v14, v26, v30
	v_cmp_gt_i32_e32 vcc, 31, v25
	v_cvt_f32_f16_e32 v30, v30
	v_cndmask_b32_e32 v16, v12, v16, vcc
	v_cmp_ne_u32_e32 vcc, 0, v13
	v_cndmask_b32_e64 v13, 0, 1, vcc
	v_lshl_or_b32 v13, v13, 9, v12
	v_cmp_eq_u32_e32 vcc, s6, v25
	v_cndmask_b32_e32 v13, v16, v13, vcc
	v_lshrrev_b32_e32 v16, 16, v31
	v_cvt_f64_f32_e32 v[30:31], v30
	v_and_or_b32 v13, v16, s4, v13
	v_and_b32_e32 v3, 0xffff, v3
	s_lshl_b64 s[0:1], s[8:9], 2
	v_mul_f64 v[30:31], v[30:31], s[2:3]
	v_lshl_or_b32 v3, v13, 16, v3
	v_mov_b32_e32 v13, s1
	v_add_co_u32_e32 v32, vcc, s0, v1
	v_addc_co_u32_e32 v33, vcc, v2, v13, vcc
	global_store_dword v[32:33], v3, off
	v_and_or_b32 v13, v31, s5, v30
	v_cmp_ne_u32_e32 vcc, 0, v13
	v_cndmask_b32_e64 v13, 0, 1, vcc
	v_lshrrev_b32_e32 v16, 8, v31
	v_bfe_u32 v25, v31, 20, 11
	v_and_or_b32 v16, v16, s7, v13
	v_sub_u32_e32 v30, 0x3f1, v25
	v_or_b32_e32 v13, 0x1000, v16
	v_med3_i32 v30, v30, 0, 13
	v_lshrrev_b32_e32 v32, v30, v13
	v_mul_f16_sdwa v26, v14, v26 dst_sel:DWORD dst_unused:UNUSED_PAD src0_sel:WORD_1 src1_sel:DWORD
	v_lshlrev_b32_e32 v30, v30, v32
	v_fma_f16 v14, v14, v34, -v26
	v_cmp_ne_u32_e32 vcc, v30, v13
	v_cvt_f32_f16_e32 v14, v14
	v_cndmask_b32_e64 v13, 0, 1, vcc
	v_add_u32_e32 v25, 0xfffffc10, v25
	v_or_b32_e32 v13, v32, v13
	v_lshl_or_b32 v30, v25, 12, v16
	v_cmp_gt_i32_e32 vcc, 1, v25
	v_cndmask_b32_e32 v13, v30, v13, vcc
	v_and_b32_e32 v30, 7, v13
	v_lshrrev_b32_e32 v26, 2, v13
	v_cvt_f64_f32_e32 v[13:14], v14
	v_cmp_lt_i32_e32 vcc, 5, v30
	v_cmp_eq_u32_e64 s[0:1], 3, v30
	s_or_b64 vcc, s[0:1], vcc
	v_mul_f64 v[13:14], v[13:14], s[2:3]
	v_addc_co_u32_e32 v26, vcc, 0, v26, vcc
	v_cmp_gt_i32_e32 vcc, 31, v25
	v_cndmask_b32_e32 v26, v12, v26, vcc
	v_cmp_ne_u32_e32 vcc, 0, v16
	v_cndmask_b32_e64 v16, 0, 1, vcc
	v_lshl_or_b32 v16, v16, 9, v12
	v_cmp_eq_u32_e32 vcc, s6, v25
	v_and_or_b32 v13, v14, s5, v13
	v_cndmask_b32_e32 v16, v26, v16, vcc
	v_lshrrev_b32_e32 v25, 16, v31
	v_cmp_ne_u32_e32 vcc, 0, v13
	v_and_or_b32 v16, v25, s4, v16
	v_cndmask_b32_e64 v13, 0, 1, vcc
	v_lshrrev_b32_e32 v25, 8, v14
	v_bfe_u32 v26, v14, 20, 11
	v_and_or_b32 v13, v25, s7, v13
	v_sub_u32_e32 v30, 0x3f1, v26
	v_or_b32_e32 v25, 0x1000, v13
	v_med3_i32 v30, v30, 0, 13
	v_lshrrev_b32_e32 v31, v30, v25
	v_lshlrev_b32_e32 v30, v30, v31
	v_cmp_ne_u32_e32 vcc, v30, v25
	v_cndmask_b32_e64 v25, 0, 1, vcc
	v_add_u32_e32 v26, 0xfffffc10, v26
	v_or_b32_e32 v25, v31, v25
	v_lshl_or_b32 v30, v26, 12, v13
	v_cmp_gt_i32_e32 vcc, 1, v26
	v_cndmask_b32_e32 v25, v30, v25, vcc
	v_and_b32_e32 v30, 7, v25
	v_lshrrev_b32_e32 v3, 16, v27
	v_cmp_lt_i32_e32 vcc, 5, v30
	v_cmp_eq_u32_e64 s[0:1], 3, v30
	v_lshrrev_b32_e32 v25, 2, v25
	s_or_b64 vcc, s[0:1], vcc
	v_mul_f16_e32 v30, v24, v3
	v_addc_co_u32_e32 v25, vcc, 0, v25, vcc
	v_fma_f16 v30, v15, v27, v30
	v_cmp_gt_i32_e32 vcc, 31, v26
	v_cvt_f32_f16_e32 v30, v30
	v_cndmask_b32_e32 v25, v12, v25, vcc
	v_cmp_ne_u32_e32 vcc, 0, v13
	v_cndmask_b32_e64 v13, 0, 1, vcc
	v_lshl_or_b32 v13, v13, 9, v12
	v_cmp_eq_u32_e32 vcc, s6, v26
	v_cndmask_b32_e32 v25, v25, v13, vcc
	v_lshrrev_b32_e32 v26, 16, v14
	v_cvt_f64_f32_e32 v[13:14], v30
	v_and_or_b32 v25, v26, s4, v25
	v_and_b32_e32 v16, 0xffff, v16
	s_lshl_b64 s[0:1], s[8:9], 3
	v_mul_f64 v[13:14], v[13:14], s[2:3]
	v_lshl_or_b32 v16, v25, 16, v16
	v_mov_b32_e32 v26, s1
	v_add_co_u32_e32 v25, vcc, s0, v1
	v_addc_co_u32_e32 v26, vcc, v2, v26, vcc
	global_store_dword v[25:26], v16, off
	v_and_or_b32 v13, v14, s5, v13
	v_cmp_ne_u32_e32 vcc, 0, v13
	v_cndmask_b32_e64 v13, 0, 1, vcc
	v_lshrrev_b32_e32 v16, 8, v14
	v_bfe_u32 v25, v14, 20, 11
	v_and_or_b32 v13, v16, s7, v13
	v_sub_u32_e32 v26, 0x3f1, v25
	v_or_b32_e32 v16, 0x1000, v13
	v_med3_i32 v26, v26, 0, 13
	v_lshrrev_b32_e32 v30, v26, v16
	v_mul_f16_e32 v24, v24, v27
	v_lshlrev_b32_e32 v26, v26, v30
	v_fma_f16 v3, v15, v3, -v24
	v_cmp_ne_u32_e32 vcc, v26, v16
	v_cvt_f32_f16_e32 v3, v3
	v_cndmask_b32_e64 v16, 0, 1, vcc
	v_add_u32_e32 v25, 0xfffffc10, v25
	v_or_b32_e32 v16, v30, v16
	v_lshl_or_b32 v26, v25, 12, v13
	v_cmp_gt_i32_e32 vcc, 1, v25
	v_cndmask_b32_e32 v16, v26, v16, vcc
	v_and_b32_e32 v26, 7, v16
	v_lshrrev_b32_e32 v24, 2, v16
	v_cvt_f64_f32_e32 v[15:16], v3
	v_cmp_lt_i32_e32 vcc, 5, v26
	v_cmp_eq_u32_e64 s[0:1], 3, v26
	s_or_b64 vcc, s[0:1], vcc
	v_mul_f64 v[15:16], v[15:16], s[2:3]
	v_addc_co_u32_e32 v3, vcc, 0, v24, vcc
	v_cmp_gt_i32_e32 vcc, 31, v25
	v_cndmask_b32_e32 v3, v12, v3, vcc
	v_cmp_ne_u32_e32 vcc, 0, v13
	v_cndmask_b32_e64 v13, 0, 1, vcc
	v_lshl_or_b32 v13, v13, 9, v12
	v_cmp_eq_u32_e32 vcc, s6, v25
	v_cndmask_b32_e32 v3, v3, v13, vcc
	v_lshrrev_b32_e32 v13, 16, v14
	v_and_or_b32 v26, v13, s4, v3
	v_and_or_b32 v3, v16, s5, v15
	v_cmp_ne_u32_e32 vcc, 0, v3
	v_cndmask_b32_e64 v3, 0, 1, vcc
	v_lshrrev_b32_e32 v13, 8, v16
	v_bfe_u32 v14, v16, 20, 11
	v_and_or_b32 v3, v13, s7, v3
	v_sub_u32_e32 v15, 0x3f1, v14
	v_or_b32_e32 v13, 0x1000, v3
	v_med3_i32 v15, v15, 0, 13
	v_lshrrev_b32_e32 v24, v15, v13
	v_lshlrev_b32_e32 v15, v15, v24
	v_cmp_ne_u32_e32 vcc, v15, v13
	v_cndmask_b32_e64 v13, 0, 1, vcc
	v_add_u32_e32 v15, 0xfffffc10, v14
	v_or_b32_e32 v13, v24, v13
	v_lshl_or_b32 v14, v15, 12, v3
	v_cmp_gt_i32_e32 vcc, 1, v15
	v_cndmask_b32_e32 v13, v14, v13, vcc
	v_and_b32_e32 v14, 7, v13
	v_cmp_lt_i32_e32 vcc, 5, v14
	v_cmp_eq_u32_e64 s[0:1], 3, v14
	v_lshrrev_b32_e32 v13, 2, v13
	s_or_b64 vcc, s[0:1], vcc
	v_addc_co_u32_e32 v13, vcc, 0, v13, vcc
	v_cmp_gt_i32_e32 vcc, 31, v15
	v_lshrrev_b32_e32 v30, 16, v28
	v_cndmask_b32_e32 v27, v12, v13, vcc
	v_mul_f16_sdwa v13, v8, v30 dst_sel:DWORD dst_unused:UNUSED_PAD src0_sel:WORD_1 src1_sel:DWORD
	v_fma_f16 v13, v8, v28, v13
	v_cvt_f32_f16_e32 v24, v13
	v_mad_u64_u32 v[13:14], s[0:1], s8, 12, v[1:2]
	v_cmp_ne_u32_e32 vcc, 0, v3
	v_cvt_f64_f32_e32 v[24:25], v24
	v_cndmask_b32_e64 v3, 0, 1, vcc
	v_cmp_eq_u32_e32 vcc, s6, v15
	v_lshrrev_b32_e32 v31, 16, v16
	v_mul_f64 v[15:16], v[24:25], s[2:3]
	v_lshl_or_b32 v3, v3, 9, v12
	v_cndmask_b32_e32 v27, v27, v3, vcc
	v_mov_b32_e32 v3, v14
	v_mad_u64_u32 v[24:25], s[0:1], s9, 12, v[3:4]
	v_and_or_b32 v3, v31, s4, v27
	v_and_b32_e32 v14, 0xffff, v26
	v_lshl_or_b32 v3, v3, 16, v14
	v_mov_b32_e32 v14, v24
	global_store_dword v[13:14], v3, off
	v_and_or_b32 v13, v16, s5, v15
	v_cmp_ne_u32_e32 vcc, 0, v13
	v_cndmask_b32_e64 v13, 0, 1, vcc
	v_lshrrev_b32_e32 v14, 8, v16
	v_and_or_b32 v15, v14, s7, v13
	v_bfe_u32 v14, v16, 20, 11
	v_sub_u32_e32 v24, 0x3f1, v14
	v_or_b32_e32 v13, 0x1000, v15
	v_med3_i32 v24, v24, 0, 13
	v_lshrrev_b32_e32 v25, v24, v13
	v_lshlrev_b32_e32 v24, v24, v25
	v_cmp_ne_u32_e32 vcc, v24, v13
	v_cndmask_b32_e64 v13, 0, 1, vcc
	v_or_b32_e32 v13, v25, v13
	v_mul_f16_sdwa v25, v8, v28 dst_sel:DWORD dst_unused:UNUSED_PAD src0_sel:WORD_1 src1_sel:DWORD
	v_fma_f16 v8, v8, v30, -v25
	v_add_u32_e32 v24, 0xfffffc10, v14
	v_cvt_f32_f16_e32 v8, v8
	v_lshl_or_b32 v14, v24, 12, v15
	v_cmp_gt_i32_e32 vcc, 1, v24
	v_cndmask_b32_e32 v13, v14, v13, vcc
	v_and_b32_e32 v14, 7, v13
	v_cmp_lt_i32_e32 vcc, 5, v14
	v_cmp_eq_u32_e64 s[0:1], 3, v14
	v_lshrrev_b32_e32 v25, 2, v13
	v_cvt_f64_f32_e32 v[13:14], v8
	s_or_b64 vcc, s[0:1], vcc
	v_addc_co_u32_e32 v8, vcc, 0, v25, vcc
	v_mul_f64 v[13:14], v[13:14], s[2:3]
	v_cmp_gt_i32_e32 vcc, 31, v24
	v_cndmask_b32_e32 v8, v12, v8, vcc
	v_cmp_ne_u32_e32 vcc, 0, v15
	v_cndmask_b32_e64 v15, 0, 1, vcc
	v_lshl_or_b32 v15, v15, 9, v12
	v_cmp_eq_u32_e32 vcc, s6, v24
	v_cndmask_b32_e32 v8, v8, v15, vcc
	v_and_or_b32 v13, v14, s5, v13
	v_lshrrev_b32_e32 v15, 16, v16
	v_cmp_ne_u32_e32 vcc, 0, v13
	v_and_or_b32 v8, v15, s4, v8
	v_cndmask_b32_e64 v13, 0, 1, vcc
	v_lshrrev_b32_e32 v15, 8, v14
	v_bfe_u32 v16, v14, 20, 11
	v_and_or_b32 v13, v15, s7, v13
	v_sub_u32_e32 v24, 0x3f1, v16
	v_or_b32_e32 v15, 0x1000, v13
	v_med3_i32 v24, v24, 0, 13
	v_lshrrev_b32_e32 v25, v24, v15
	v_lshlrev_b32_e32 v24, v24, v25
	v_cmp_ne_u32_e32 vcc, v24, v15
	v_cndmask_b32_e64 v15, 0, 1, vcc
	v_add_u32_e32 v16, 0xfffffc10, v16
	v_or_b32_e32 v15, v25, v15
	v_lshl_or_b32 v24, v16, 12, v13
	v_cmp_gt_i32_e32 vcc, 1, v16
	v_cndmask_b32_e32 v15, v24, v15, vcc
	v_and_b32_e32 v24, 7, v15
	v_lshrrev_b32_e32 v3, 16, v29
	v_cmp_lt_i32_e32 vcc, 5, v24
	v_cmp_eq_u32_e64 s[0:1], 3, v24
	v_lshrrev_b32_e32 v15, 2, v15
	s_or_b64 vcc, s[0:1], vcc
	v_mul_f16_e32 v24, v23, v3
	v_addc_co_u32_e32 v15, vcc, 0, v15, vcc
	v_fma_f16 v24, v9, v29, v24
	v_cmp_gt_i32_e32 vcc, 31, v16
	v_cvt_f32_f16_e32 v24, v24
	v_cndmask_b32_e32 v15, v12, v15, vcc
	v_cmp_ne_u32_e32 vcc, 0, v13
	v_cndmask_b32_e64 v13, 0, 1, vcc
	v_lshl_or_b32 v13, v13, 9, v12
	v_cmp_eq_u32_e32 vcc, s6, v16
	v_cndmask_b32_e32 v15, v15, v13, vcc
	v_lshrrev_b32_e32 v16, 16, v14
	v_cvt_f64_f32_e32 v[13:14], v24
	v_and_or_b32 v15, v16, s4, v15
	v_and_b32_e32 v8, 0xffff, v8
	s_lshl_b64 s[0:1], s[8:9], 4
	v_mul_f64 v[13:14], v[13:14], s[2:3]
	v_lshl_or_b32 v8, v15, 16, v8
	v_mov_b32_e32 v16, s1
	v_add_co_u32_e32 v15, vcc, s0, v1
	v_addc_co_u32_e32 v16, vcc, v2, v16, vcc
	global_store_dword v[15:16], v8, off
	v_and_or_b32 v8, v14, s5, v13
	v_cmp_ne_u32_e32 vcc, 0, v8
	v_cndmask_b32_e64 v8, 0, 1, vcc
	v_lshrrev_b32_e32 v13, 8, v14
	v_bfe_u32 v15, v14, 20, 11
	v_and_or_b32 v13, v13, s7, v8
	v_sub_u32_e32 v16, 0x3f1, v15
	v_or_b32_e32 v8, 0x1000, v13
	v_med3_i32 v16, v16, 0, 13
	v_lshrrev_b32_e32 v24, v16, v8
	v_lshlrev_b32_e32 v16, v16, v24
	v_mul_f16_e32 v23, v23, v29
	v_cmp_ne_u32_e32 vcc, v16, v8
	v_fma_f16 v3, v9, v3, -v23
	v_cndmask_b32_e64 v8, 0, 1, vcc
	v_add_u32_e32 v15, 0xfffffc10, v15
	v_cvt_f32_f16_e32 v3, v3
	v_or_b32_e32 v8, v24, v8
	v_lshl_or_b32 v16, v15, 12, v13
	v_cmp_gt_i32_e32 vcc, 1, v15
	v_cndmask_b32_e32 v8, v16, v8, vcc
	v_and_b32_e32 v16, 7, v8
	v_cmp_lt_i32_e32 vcc, 5, v16
	v_cmp_eq_u32_e64 s[0:1], 3, v16
	v_lshrrev_b32_e32 v16, 2, v8
	v_cvt_f64_f32_e32 v[8:9], v3
	s_or_b64 vcc, s[0:1], vcc
	v_addc_co_u32_e32 v3, vcc, 0, v16, vcc
	v_mul_f64 v[8:9], v[8:9], s[2:3]
	v_cmp_gt_i32_e32 vcc, 31, v15
	v_cndmask_b32_e32 v3, v12, v3, vcc
	v_cmp_ne_u32_e32 vcc, 0, v13
	v_cndmask_b32_e64 v13, 0, 1, vcc
	v_lshl_or_b32 v13, v13, 9, v12
	v_cmp_eq_u32_e32 vcc, s6, v15
	v_cndmask_b32_e32 v3, v3, v13, vcc
	v_lshrrev_b32_e32 v13, 16, v14
	v_and_or_b32 v23, v13, s4, v3
	v_and_or_b32 v3, v9, s5, v8
	v_cmp_ne_u32_e32 vcc, 0, v3
	v_cndmask_b32_e64 v3, 0, 1, vcc
	v_lshrrev_b32_e32 v8, 8, v9
	v_bfe_u32 v13, v9, 20, 11
	v_and_or_b32 v3, v8, s7, v3
	v_sub_u32_e32 v14, 0x3f1, v13
	v_or_b32_e32 v8, 0x1000, v3
	v_med3_i32 v14, v14, 0, 13
	v_lshrrev_b32_e32 v15, v14, v8
	v_lshlrev_b32_e32 v14, v14, v15
	v_cmp_ne_u32_e32 vcc, v14, v8
	v_cndmask_b32_e64 v8, 0, 1, vcc
	v_add_u32_e32 v24, 0xfffffc10, v13
	v_or_b32_e32 v8, v15, v8
	v_lshl_or_b32 v13, v24, 12, v3
	v_cmp_gt_i32_e32 vcc, 1, v24
	v_cndmask_b32_e32 v8, v13, v8, vcc
	v_and_b32_e32 v13, 7, v8
	v_lshrrev_b32_e32 v25, 16, v17
	v_cmp_lt_i32_e32 vcc, 5, v13
	v_cmp_eq_u32_e64 s[0:1], 3, v13
	v_mul_f16_sdwa v13, v10, v25 dst_sel:DWORD dst_unused:UNUSED_PAD src0_sel:WORD_1 src1_sel:DWORD
	v_fma_f16 v13, v10, v17, v13
	v_cvt_f32_f16_e32 v15, v13
	v_lshrrev_b32_e32 v8, 2, v8
	s_or_b64 vcc, s[0:1], vcc
	v_addc_co_u32_e32 v8, vcc, 0, v8, vcc
	v_cmp_gt_i32_e32 vcc, 31, v24
	v_cvt_f64_f32_e32 v[15:16], v15
	v_cndmask_b32_e32 v8, v12, v8, vcc
	v_cmp_ne_u32_e32 vcc, 0, v3
	v_cndmask_b32_e64 v3, 0, 1, vcc
	v_lshl_or_b32 v3, v3, 9, v12
	v_mad_u64_u32 v[13:14], s[0:1], s8, 20, v[1:2]
	v_cmp_eq_u32_e32 vcc, s6, v24
	v_cndmask_b32_e32 v24, v8, v3, vcc
	v_lshrrev_b32_e32 v26, 16, v9
	v_mul_f64 v[8:9], v[15:16], s[2:3]
	v_mov_b32_e32 v3, v14
	v_mad_u64_u32 v[14:15], s[0:1], s9, 20, v[3:4]
	v_and_or_b32 v3, v26, s4, v24
	v_and_b32_e32 v15, 0xffff, v23
	v_lshl_or_b32 v3, v3, 16, v15
	global_store_dword v[13:14], v3, off
	v_and_or_b32 v3, v9, s5, v8
	v_cmp_ne_u32_e32 vcc, 0, v3
	v_cndmask_b32_e64 v3, 0, 1, vcc
	v_lshrrev_b32_e32 v8, 8, v9
	v_bfe_u32 v13, v9, 20, 11
	v_and_or_b32 v3, v8, s7, v3
	v_sub_u32_e32 v14, 0x3f1, v13
	v_or_b32_e32 v8, 0x1000, v3
	v_med3_i32 v14, v14, 0, 13
	v_lshrrev_b32_e32 v15, v14, v8
	v_lshlrev_b32_e32 v14, v14, v15
	v_cmp_ne_u32_e32 vcc, v14, v8
	v_mul_f16_sdwa v14, v10, v17 dst_sel:DWORD dst_unused:UNUSED_PAD src0_sel:WORD_1 src1_sel:DWORD
	v_cndmask_b32_e64 v8, 0, 1, vcc
	v_fma_f16 v10, v10, v25, -v14
	v_or_b32_e32 v8, v15, v8
	v_add_u32_e32 v15, 0xfffffc10, v13
	v_cvt_f32_f16_e32 v10, v10
	v_lshl_or_b32 v13, v15, 12, v3
	v_cmp_gt_i32_e32 vcc, 1, v15
	v_cndmask_b32_e32 v8, v13, v8, vcc
	v_and_b32_e32 v13, 7, v8
	v_cmp_lt_i32_e32 vcc, 5, v13
	v_cmp_eq_u32_e64 s[0:1], 3, v13
	v_cvt_f64_f32_e32 v[13:14], v10
	v_lshrrev_b32_e32 v8, 2, v8
	s_or_b64 vcc, s[0:1], vcc
	v_addc_co_u32_e32 v8, vcc, 0, v8, vcc
	v_mul_f64 v[13:14], v[13:14], s[2:3]
	v_cmp_gt_i32_e32 vcc, 31, v15
	v_cndmask_b32_e32 v8, v12, v8, vcc
	v_cmp_ne_u32_e32 vcc, 0, v3
	v_cndmask_b32_e64 v3, 0, 1, vcc
	v_lshl_or_b32 v3, v3, 9, v12
	v_cmp_eq_u32_e32 vcc, s6, v15
	v_cndmask_b32_e32 v3, v8, v3, vcc
	v_lshrrev_b32_e32 v8, 16, v9
	v_and_or_b32 v17, v8, s4, v3
	v_and_or_b32 v3, v14, s5, v13
	v_cmp_ne_u32_e32 vcc, 0, v3
	v_cndmask_b32_e64 v3, 0, 1, vcc
	v_lshrrev_b32_e32 v8, 8, v14
	v_bfe_u32 v9, v14, 20, 11
	v_and_or_b32 v3, v8, s7, v3
	v_sub_u32_e32 v10, 0x3f1, v9
	v_or_b32_e32 v8, 0x1000, v3
	v_med3_i32 v10, v10, 0, 13
	v_lshrrev_b32_e32 v13, v10, v8
	v_lshlrev_b32_e32 v10, v10, v13
	v_cmp_ne_u32_e32 vcc, v10, v8
	v_cndmask_b32_e64 v8, 0, 1, vcc
	v_add_u32_e32 v10, 0xfffffc10, v9
	v_or_b32_e32 v8, v13, v8
	v_lshl_or_b32 v9, v10, 12, v3
	v_cmp_gt_i32_e32 vcc, 1, v10
	v_cndmask_b32_e32 v8, v9, v8, vcc
	v_and_b32_e32 v9, 7, v8
	v_cmp_lt_i32_e32 vcc, 5, v9
	v_cmp_eq_u32_e64 s[0:1], 3, v9
	v_lshrrev_b32_e32 v8, 2, v8
	s_or_b64 vcc, s[0:1], vcc
	v_addc_co_u32_e32 v8, vcc, 0, v8, vcc
	v_lshrrev_b32_e32 v23, 16, v18
	v_cmp_gt_i32_e32 vcc, 31, v10
	v_cndmask_b32_e32 v13, v12, v8, vcc
	v_mul_f16_e32 v8, v22, v23
	v_fma_f16 v8, v11, v18, v8
	v_cvt_f32_f16_e32 v15, v8
	v_cmp_ne_u32_e32 vcc, 0, v3
	v_cndmask_b32_e64 v3, 0, 1, vcc
	v_lshl_or_b32 v3, v3, 9, v12
	v_cvt_f64_f32_e32 v[15:16], v15
	v_mad_u64_u32 v[8:9], s[0:1], s8, 24, v[1:2]
	v_cmp_eq_u32_e32 vcc, s6, v10
	v_cndmask_b32_e32 v24, v13, v3, vcc
	v_lshrrev_b32_e32 v25, 16, v14
	v_mul_f64 v[13:14], v[15:16], s[2:3]
	v_mov_b32_e32 v3, v9
	v_mad_u64_u32 v[9:10], s[0:1], s9, 24, v[3:4]
	v_and_or_b32 v3, v25, s4, v24
	v_and_b32_e32 v10, 0xffff, v17
	v_lshl_or_b32 v3, v3, 16, v10
	global_store_dword v[8:9], v3, off
	v_and_or_b32 v3, v14, s5, v13
	v_cmp_ne_u32_e32 vcc, 0, v3
	v_cndmask_b32_e64 v3, 0, 1, vcc
	v_lshrrev_b32_e32 v8, 8, v14
	v_bfe_u32 v9, v14, 20, 11
	v_and_or_b32 v3, v8, s7, v3
	v_sub_u32_e32 v10, 0x3f1, v9
	v_or_b32_e32 v8, 0x1000, v3
	v_med3_i32 v10, v10, 0, 13
	v_lshrrev_b32_e32 v13, v10, v8
	v_lshlrev_b32_e32 v10, v10, v13
	v_cmp_ne_u32_e32 vcc, v10, v8
	v_cndmask_b32_e64 v8, 0, 1, vcc
	v_or_b32_e32 v8, v13, v8
	v_mul_f16_e32 v13, v22, v18
	v_fma_f16 v11, v11, v23, -v13
	v_add_u32_e32 v10, 0xfffffc10, v9
	v_cvt_f32_f16_e32 v11, v11
	v_lshl_or_b32 v9, v10, 12, v3
	v_cmp_gt_i32_e32 vcc, 1, v10
	v_cndmask_b32_e32 v8, v9, v8, vcc
	v_and_b32_e32 v9, 7, v8
	v_cmp_lt_i32_e32 vcc, 5, v9
	v_cmp_eq_u32_e64 s[0:1], 3, v9
	v_lshrrev_b32_e32 v13, 2, v8
	v_cvt_f64_f32_e32 v[8:9], v11
	s_or_b64 vcc, s[0:1], vcc
	v_addc_co_u32_e32 v11, vcc, 0, v13, vcc
	v_mul_f64 v[8:9], v[8:9], s[2:3]
	v_cmp_gt_i32_e32 vcc, 31, v10
	v_cndmask_b32_e32 v11, v12, v11, vcc
	v_cmp_ne_u32_e32 vcc, 0, v3
	v_cndmask_b32_e64 v3, 0, 1, vcc
	v_lshl_or_b32 v3, v3, 9, v12
	v_cmp_eq_u32_e32 vcc, s6, v10
	v_cndmask_b32_e32 v3, v11, v3, vcc
	v_lshrrev_b32_e32 v10, 16, v14
	v_and_or_b32 v22, v10, s4, v3
	v_and_or_b32 v3, v9, s5, v8
	v_cmp_ne_u32_e32 vcc, 0, v3
	v_cndmask_b32_e64 v3, 0, 1, vcc
	v_lshrrev_b32_e32 v8, 8, v9
	v_bfe_u32 v10, v9, 20, 11
	v_and_or_b32 v3, v8, s7, v3
	v_sub_u32_e32 v11, 0x3f1, v10
	v_or_b32_e32 v8, 0x1000, v3
	v_med3_i32 v11, v11, 0, 13
	v_lshrrev_b32_e32 v13, v11, v8
	v_lshlrev_b32_e32 v11, v11, v13
	v_cmp_ne_u32_e32 vcc, v11, v8
	v_cndmask_b32_e64 v8, 0, 1, vcc
	v_add_u32_e32 v23, 0xfffffc10, v10
	v_or_b32_e32 v8, v13, v8
	v_lshl_or_b32 v10, v23, 12, v3
	v_cmp_gt_i32_e32 vcc, 1, v23
	v_cndmask_b32_e32 v8, v10, v8, vcc
	v_and_b32_e32 v10, 7, v8
	v_cmp_lt_i32_e32 vcc, 5, v10
	v_cmp_eq_u32_e64 s[0:1], 3, v10
	ds_read2_b32 v[10:11], v21 offset0:8 offset1:9
	v_lshrrev_b32_e32 v8, 2, v8
	s_or_b64 vcc, s[0:1], vcc
	v_addc_co_u32_e32 v8, vcc, 0, v8, vcc
	s_waitcnt lgkmcnt(0)
	v_lshrrev_b32_e32 v24, 16, v10
	v_mul_f16_sdwa v15, v4, v24 dst_sel:DWORD dst_unused:UNUSED_PAD src0_sel:WORD_1 src1_sel:DWORD
	v_fma_f16 v15, v4, v10, v15
	v_cvt_f32_f16_e32 v17, v15
	v_cmp_gt_i32_e32 vcc, 31, v23
	v_cndmask_b32_e32 v8, v12, v8, vcc
	v_cmp_ne_u32_e32 vcc, 0, v3
	v_cvt_f64_f32_e32 v[17:18], v17
	v_cndmask_b32_e64 v3, 0, 1, vcc
	v_lshl_or_b32 v3, v3, 9, v12
	v_mad_u64_u32 v[15:16], s[0:1], s8, 28, v[1:2]
	v_cmp_eq_u32_e32 vcc, s6, v23
	v_cndmask_b32_e32 v23, v8, v3, vcc
	v_lshrrev_b32_e32 v25, 16, v9
	v_mul_f64 v[8:9], v[17:18], s[2:3]
	v_mov_b32_e32 v3, v16
	v_mad_u64_u32 v[16:17], s[0:1], s9, 28, v[3:4]
	v_and_or_b32 v3, v25, s4, v23
	v_and_b32_e32 v17, 0xffff, v22
	v_lshl_or_b32 v3, v3, 16, v17
	ds_read2_b32 v[13:14], v21 offset0:10 offset1:11
	ds_read_b32 v21, v21 offset:48
	global_store_dword v[15:16], v3, off
	v_and_or_b32 v3, v9, s5, v8
	v_cmp_ne_u32_e32 vcc, 0, v3
	v_cndmask_b32_e64 v3, 0, 1, vcc
	v_lshrrev_b32_e32 v8, 8, v9
	v_bfe_u32 v16, v9, 20, 11
	v_and_or_b32 v8, v8, s7, v3
	v_sub_u32_e32 v17, 0x3f1, v16
	v_or_b32_e32 v3, 0x1000, v8
	v_med3_i32 v17, v17, 0, 13
	v_lshrrev_b32_e32 v18, v17, v3
	v_mul_f16_sdwa v10, v4, v10 dst_sel:DWORD dst_unused:UNUSED_PAD src0_sel:WORD_1 src1_sel:DWORD
	v_lshlrev_b32_e32 v17, v17, v18
	v_fma_f16 v4, v4, v24, -v10
	v_cmp_ne_u32_e32 vcc, v17, v3
	v_cvt_f32_f16_e32 v4, v4
	v_cndmask_b32_e64 v3, 0, 1, vcc
	v_add_u32_e32 v16, 0xfffffc10, v16
	v_or_b32_e32 v3, v18, v3
	v_lshl_or_b32 v17, v16, 12, v8
	v_cmp_gt_i32_e32 vcc, 1, v16
	v_cndmask_b32_e32 v3, v17, v3, vcc
	v_and_b32_e32 v17, 7, v3
	v_lshrrev_b32_e32 v10, 2, v3
	v_cvt_f64_f32_e32 v[3:4], v4
	v_cmp_lt_i32_e32 vcc, 5, v17
	v_cmp_eq_u32_e64 s[0:1], 3, v17
	s_or_b64 vcc, s[0:1], vcc
	v_mul_f64 v[3:4], v[3:4], s[2:3]
	v_addc_co_u32_e32 v10, vcc, 0, v10, vcc
	v_cmp_gt_i32_e32 vcc, 31, v16
	v_cndmask_b32_e32 v10, v12, v10, vcc
	v_cmp_ne_u32_e32 vcc, 0, v8
	v_cndmask_b32_e64 v8, 0, 1, vcc
	v_lshl_or_b32 v8, v8, 9, v12
	v_cmp_eq_u32_e32 vcc, s6, v16
	v_and_or_b32 v3, v4, s5, v3
	v_cndmask_b32_e32 v8, v10, v8, vcc
	v_lshrrev_b32_e32 v9, 16, v9
	v_cmp_ne_u32_e32 vcc, 0, v3
	v_and_or_b32 v8, v9, s4, v8
	v_cndmask_b32_e64 v3, 0, 1, vcc
	v_lshrrev_b32_e32 v9, 8, v4
	v_bfe_u32 v10, v4, 20, 11
	v_and_or_b32 v3, v9, s7, v3
	v_sub_u32_e32 v16, 0x3f1, v10
	v_or_b32_e32 v9, 0x1000, v3
	v_med3_i32 v16, v16, 0, 13
	v_lshrrev_b32_e32 v17, v16, v9
	v_lshlrev_b32_e32 v16, v16, v17
	v_cmp_ne_u32_e32 vcc, v16, v9
	v_cndmask_b32_e64 v9, 0, 1, vcc
	v_add_u32_e32 v10, 0xfffffc10, v10
	v_or_b32_e32 v9, v17, v9
	v_lshl_or_b32 v16, v10, 12, v3
	v_cmp_gt_i32_e32 vcc, 1, v10
	v_cndmask_b32_e32 v9, v16, v9, vcc
	v_and_b32_e32 v16, 7, v9
	v_lshrrev_b32_e32 v15, 16, v11
	v_cmp_lt_i32_e32 vcc, 5, v16
	v_cmp_eq_u32_e64 s[0:1], 3, v16
	v_lshrrev_b32_e32 v9, 2, v9
	s_or_b64 vcc, s[0:1], vcc
	v_mul_f16_e32 v16, v20, v15
	v_addc_co_u32_e32 v9, vcc, 0, v9, vcc
	v_fma_f16 v16, v5, v11, v16
	v_cmp_gt_i32_e32 vcc, 31, v10
	v_cvt_f32_f16_e32 v16, v16
	v_cndmask_b32_e32 v9, v12, v9, vcc
	v_cmp_ne_u32_e32 vcc, 0, v3
	v_cndmask_b32_e64 v3, 0, 1, vcc
	v_lshl_or_b32 v3, v3, 9, v12
	v_cmp_eq_u32_e32 vcc, s6, v10
	v_cndmask_b32_e32 v9, v9, v3, vcc
	v_lshrrev_b32_e32 v10, 16, v4
	v_cvt_f64_f32_e32 v[3:4], v16
	v_and_or_b32 v9, v10, s4, v9
	v_and_b32_e32 v8, 0xffff, v8
	s_lshl_b64 s[0:1], s[8:9], 5
	v_mul_f64 v[3:4], v[3:4], s[2:3]
	v_lshl_or_b32 v10, v9, 16, v8
	v_mov_b32_e32 v9, s1
	v_add_co_u32_e32 v8, vcc, s0, v1
	v_addc_co_u32_e32 v9, vcc, v2, v9, vcc
	global_store_dword v[8:9], v10, off
	v_and_or_b32 v3, v4, s5, v3
	v_cmp_ne_u32_e32 vcc, 0, v3
	v_cndmask_b32_e64 v3, 0, 1, vcc
	v_lshrrev_b32_e32 v8, 8, v4
	v_bfe_u32 v9, v4, 20, 11
	v_and_or_b32 v3, v8, s7, v3
	v_sub_u32_e32 v10, 0x3f1, v9
	v_or_b32_e32 v8, 0x1000, v3
	v_med3_i32 v10, v10, 0, 13
	v_lshrrev_b32_e32 v16, v10, v8
	v_lshlrev_b32_e32 v10, v10, v16
	v_mul_f16_e32 v11, v20, v11
	v_cmp_ne_u32_e32 vcc, v10, v8
	v_fma_f16 v5, v5, v15, -v11
	v_cndmask_b32_e64 v8, 0, 1, vcc
	v_add_u32_e32 v10, 0xfffffc10, v9
	v_cvt_f32_f16_e32 v5, v5
	v_or_b32_e32 v8, v16, v8
	v_lshl_or_b32 v9, v10, 12, v3
	v_cmp_gt_i32_e32 vcc, 1, v10
	v_cndmask_b32_e32 v8, v9, v8, vcc
	v_and_b32_e32 v9, 7, v8
	v_cmp_lt_i32_e32 vcc, 5, v9
	v_cmp_eq_u32_e64 s[0:1], 3, v9
	v_lshrrev_b32_e32 v11, 2, v8
	v_cvt_f64_f32_e32 v[8:9], v5
	s_or_b64 vcc, s[0:1], vcc
	v_addc_co_u32_e32 v5, vcc, 0, v11, vcc
	v_mul_f64 v[8:9], v[8:9], s[2:3]
	v_cmp_gt_i32_e32 vcc, 31, v10
	v_cndmask_b32_e32 v5, v12, v5, vcc
	v_cmp_ne_u32_e32 vcc, 0, v3
	v_cndmask_b32_e64 v3, 0, 1, vcc
	v_lshl_or_b32 v3, v3, 9, v12
	v_cmp_eq_u32_e32 vcc, s6, v10
	v_cndmask_b32_e32 v3, v5, v3, vcc
	v_lshrrev_b32_e32 v4, 16, v4
	v_and_or_b32 v15, v4, s4, v3
	v_and_or_b32 v3, v9, s5, v8
	v_cmp_ne_u32_e32 vcc, 0, v3
	v_cndmask_b32_e64 v3, 0, 1, vcc
	v_lshrrev_b32_e32 v4, 8, v9
	v_bfe_u32 v5, v9, 20, 11
	v_and_or_b32 v3, v4, s7, v3
	v_sub_u32_e32 v8, 0x3f1, v5
	v_or_b32_e32 v4, 0x1000, v3
	v_med3_i32 v8, v8, 0, 13
	v_lshrrev_b32_e32 v10, v8, v4
	v_lshlrev_b32_e32 v8, v8, v10
	v_cmp_ne_u32_e32 vcc, v8, v4
	v_cndmask_b32_e64 v4, 0, 1, vcc
	v_add_u32_e32 v5, 0xfffffc10, v5
	v_or_b32_e32 v4, v10, v4
	v_lshl_or_b32 v8, v5, 12, v3
	v_cmp_gt_i32_e32 vcc, 1, v5
	v_cndmask_b32_e32 v4, v8, v4, vcc
	v_and_b32_e32 v8, 7, v4
	v_cmp_lt_i32_e32 vcc, 5, v8
	v_cmp_eq_u32_e64 s[0:1], 3, v8
	v_lshrrev_b32_e32 v4, 2, v4
	s_or_b64 vcc, s[0:1], vcc
	v_addc_co_u32_e32 v4, vcc, 0, v4, vcc
	v_cmp_gt_i32_e32 vcc, 31, v5
	s_waitcnt lgkmcnt(1)
	v_lshrrev_b32_e32 v16, 16, v13
	v_cndmask_b32_e32 v8, v12, v4, vcc
	v_mul_f16_sdwa v4, v6, v16 dst_sel:DWORD dst_unused:UNUSED_PAD src0_sel:WORD_1 src1_sel:DWORD
	v_fma_f16 v4, v6, v13, v4
	v_cvt_f32_f16_e32 v10, v4
	v_cmp_ne_u32_e32 vcc, 0, v3
	v_cndmask_b32_e64 v3, 0, 1, vcc
	v_lshl_or_b32 v17, v3, 9, v12
	v_cvt_f64_f32_e32 v[10:11], v10
	v_cmp_eq_u32_e32 vcc, s6, v5
	v_mad_u64_u32 v[3:4], s[0:1], s8, 36, v[1:2]
	v_cndmask_b32_e32 v17, v8, v17, vcc
	v_lshrrev_b32_e32 v18, 16, v9
	v_mul_f64 v[8:9], v[10:11], s[2:3]
	v_mad_u64_u32 v[4:5], s[0:1], s9, 36, v[4:5]
	v_and_or_b32 v5, v18, s4, v17
	v_and_b32_e32 v10, 0xffff, v15
	v_lshl_or_b32 v5, v5, 16, v10
	global_store_dword v[3:4], v5, off
	v_lshrrev_b32_e32 v10, 16, v14
	v_and_or_b32 v3, v9, s5, v8
	v_cmp_ne_u32_e32 vcc, 0, v3
	v_cndmask_b32_e64 v3, 0, 1, vcc
	v_lshrrev_b32_e32 v4, 8, v9
	v_and_or_b32 v5, v4, s7, v3
	v_bfe_u32 v4, v9, 20, 11
	v_sub_u32_e32 v8, 0x3f1, v4
	v_or_b32_e32 v3, 0x1000, v5
	v_med3_i32 v8, v8, 0, 13
	v_lshrrev_b32_e32 v11, v8, v3
	v_lshlrev_b32_e32 v8, v8, v11
	v_cmp_ne_u32_e32 vcc, v8, v3
	v_cndmask_b32_e64 v3, 0, 1, vcc
	v_or_b32_e32 v3, v11, v3
	v_mul_f16_sdwa v11, v6, v13 dst_sel:DWORD dst_unused:UNUSED_PAD src0_sel:WORD_1 src1_sel:DWORD
	v_fma_f16 v6, v6, v16, -v11
	v_add_u32_e32 v8, 0xfffffc10, v4
	v_cvt_f32_f16_e32 v6, v6
	v_lshl_or_b32 v4, v8, 12, v5
	v_cmp_gt_i32_e32 vcc, 1, v8
	v_cndmask_b32_e32 v3, v4, v3, vcc
	v_and_b32_e32 v4, 7, v3
	v_cmp_lt_i32_e32 vcc, 5, v4
	v_cmp_eq_u32_e64 s[0:1], 3, v4
	v_lshrrev_b32_e32 v11, 2, v3
	v_cvt_f64_f32_e32 v[3:4], v6
	s_or_b64 vcc, s[0:1], vcc
	v_addc_co_u32_e32 v6, vcc, 0, v11, vcc
	v_mul_f64 v[3:4], v[3:4], s[2:3]
	v_cmp_gt_i32_e32 vcc, 31, v8
	v_cndmask_b32_e32 v6, v12, v6, vcc
	v_cmp_ne_u32_e32 vcc, 0, v5
	v_cndmask_b32_e64 v5, 0, 1, vcc
	v_lshl_or_b32 v5, v5, 9, v12
	v_cmp_eq_u32_e32 vcc, s6, v8
	v_cndmask_b32_e32 v5, v6, v5, vcc
	v_and_or_b32 v3, v4, s5, v3
	v_lshrrev_b32_e32 v6, 16, v9
	v_cmp_ne_u32_e32 vcc, 0, v3
	v_and_or_b32 v11, v6, s4, v5
	v_cndmask_b32_e64 v3, 0, 1, vcc
	v_lshrrev_b32_e32 v5, 8, v4
	v_bfe_u32 v6, v4, 20, 11
	v_and_or_b32 v3, v5, s7, v3
	v_sub_u32_e32 v8, 0x3f1, v6
	v_or_b32_e32 v5, 0x1000, v3
	v_med3_i32 v8, v8, 0, 13
	v_lshrrev_b32_e32 v9, v8, v5
	v_lshlrev_b32_e32 v8, v8, v9
	v_cmp_ne_u32_e32 vcc, v8, v5
	v_cndmask_b32_e64 v5, 0, 1, vcc
	v_add_u32_e32 v13, 0xfffffc10, v6
	v_or_b32_e32 v5, v9, v5
	v_lshl_or_b32 v6, v13, 12, v3
	v_cmp_gt_i32_e32 vcc, 1, v13
	v_cndmask_b32_e32 v5, v6, v5, vcc
	v_and_b32_e32 v6, 7, v5
	v_cmp_lt_i32_e32 vcc, 5, v6
	v_cmp_eq_u32_e64 s[0:1], 3, v6
	v_lshrrev_b32_e32 v5, 2, v5
	s_or_b64 vcc, s[0:1], vcc
	v_addc_co_u32_e32 v5, vcc, 0, v5, vcc
	v_cmp_gt_i32_e32 vcc, 31, v13
	v_cndmask_b32_e32 v15, v12, v5, vcc
	v_mul_f16_e32 v5, v19, v10
	v_fma_f16 v5, v7, v14, v5
	v_cvt_f32_f16_e32 v8, v5
	v_mad_u64_u32 v[5:6], s[0:1], s8, 40, v[1:2]
	v_cmp_ne_u32_e32 vcc, 0, v3
	v_cvt_f64_f32_e32 v[8:9], v8
	v_cndmask_b32_e64 v3, 0, 1, vcc
	v_lshl_or_b32 v3, v3, 9, v12
	v_cmp_eq_u32_e32 vcc, s6, v13
	v_mul_f64 v[8:9], v[8:9], s[2:3]
	v_cndmask_b32_e32 v13, v15, v3, vcc
	v_mov_b32_e32 v3, v6
	v_lshrrev_b32_e32 v15, 16, v4
	v_mad_u64_u32 v[3:4], s[0:1], s9, 40, v[3:4]
	v_and_or_b32 v4, v15, s4, v13
	v_and_b32_e32 v6, 0xffff, v11
	v_lshl_or_b32 v4, v4, 16, v6
	v_mov_b32_e32 v6, v3
	v_and_or_b32 v3, v9, s5, v8
	v_cmp_ne_u32_e32 vcc, 0, v3
	global_store_dword v[5:6], v4, off
	v_cndmask_b32_e64 v3, 0, 1, vcc
	v_lshrrev_b32_e32 v4, 8, v9
	v_and_or_b32 v5, v4, s7, v3
	v_bfe_u32 v4, v9, 20, 11
	v_sub_u32_e32 v6, 0x3f1, v4
	v_or_b32_e32 v3, 0x1000, v5
	v_med3_i32 v6, v6, 0, 13
	v_lshrrev_b32_e32 v8, v6, v3
	v_lshlrev_b32_e32 v6, v6, v8
	v_cmp_ne_u32_e32 vcc, v6, v3
	v_cndmask_b32_e64 v3, 0, 1, vcc
	v_or_b32_e32 v3, v8, v3
	v_mul_f16_e32 v8, v19, v14
	v_fma_f16 v7, v7, v10, -v8
	v_add_u32_e32 v6, 0xfffffc10, v4
	v_cvt_f32_f16_e32 v7, v7
	v_lshl_or_b32 v4, v6, 12, v5
	v_cmp_gt_i32_e32 vcc, 1, v6
	v_cndmask_b32_e32 v3, v4, v3, vcc
	v_and_b32_e32 v4, 7, v3
	v_cmp_lt_i32_e32 vcc, 5, v4
	v_cmp_eq_u32_e64 s[0:1], 3, v4
	v_lshrrev_b32_e32 v8, 2, v3
	v_cvt_f64_f32_e32 v[3:4], v7
	s_or_b64 vcc, s[0:1], vcc
	v_addc_co_u32_e32 v7, vcc, 0, v8, vcc
	v_mul_f64 v[3:4], v[3:4], s[2:3]
	v_cmp_gt_i32_e32 vcc, 31, v6
	v_cndmask_b32_e32 v7, v12, v7, vcc
	v_cmp_ne_u32_e32 vcc, 0, v5
	v_cndmask_b32_e64 v5, 0, 1, vcc
	v_lshl_or_b32 v5, v5, 9, v12
	v_cmp_eq_u32_e32 vcc, s6, v6
	v_cndmask_b32_e32 v5, v7, v5, vcc
	v_and_or_b32 v3, v4, s5, v3
	v_lshrrev_b32_e32 v6, 16, v9
	v_cmp_ne_u32_e32 vcc, 0, v3
	v_and_or_b32 v9, v6, s4, v5
	v_cndmask_b32_e64 v3, 0, 1, vcc
	v_lshrrev_b32_e32 v5, 8, v4
	v_bfe_u32 v6, v4, 20, 11
	v_and_or_b32 v3, v5, s7, v3
	v_sub_u32_e32 v7, 0x3f1, v6
	v_or_b32_e32 v5, 0x1000, v3
	v_med3_i32 v7, v7, 0, 13
	v_lshrrev_b32_e32 v8, v7, v5
	v_lshlrev_b32_e32 v7, v7, v8
	v_cmp_ne_u32_e32 vcc, v7, v5
	v_cndmask_b32_e64 v5, 0, 1, vcc
	v_add_u32_e32 v10, 0xfffffc10, v6
	v_or_b32_e32 v5, v8, v5
	v_lshl_or_b32 v6, v10, 12, v3
	v_cmp_gt_i32_e32 vcc, 1, v10
	v_cndmask_b32_e32 v5, v6, v5, vcc
	v_and_b32_e32 v6, 7, v5
	v_cmp_lt_i32_e32 vcc, 5, v6
	v_cmp_eq_u32_e64 s[0:1], 3, v6
	v_lshrrev_b32_e32 v5, 2, v5
	s_or_b64 vcc, s[0:1], vcc
	v_addc_co_u32_e32 v5, vcc, 0, v5, vcc
	v_cmp_gt_i32_e32 vcc, 31, v10
	s_waitcnt lgkmcnt(0)
	v_lshrrev_b32_e32 v13, 16, v21
	v_cndmask_b32_e32 v11, v12, v5, vcc
	v_mul_f16_sdwa v5, v0, v13 dst_sel:DWORD dst_unused:UNUSED_PAD src0_sel:WORD_1 src1_sel:DWORD
	v_fma_f16 v5, v0, v21, v5
	v_cvt_f32_f16_e32 v7, v5
	v_mad_u64_u32 v[5:6], s[0:1], s8, 44, v[1:2]
	v_cmp_ne_u32_e32 vcc, 0, v3
	v_cvt_f64_f32_e32 v[7:8], v7
	v_cndmask_b32_e64 v3, 0, 1, vcc
	v_lshl_or_b32 v3, v3, 9, v12
	v_cmp_eq_u32_e32 vcc, s6, v10
	v_mul_f64 v[7:8], v[7:8], s[2:3]
	v_cndmask_b32_e32 v10, v11, v3, vcc
	v_mov_b32_e32 v3, v6
	v_lshrrev_b32_e32 v11, 16, v4
	v_mad_u64_u32 v[3:4], s[0:1], s9, 44, v[3:4]
	v_and_or_b32 v4, v11, s4, v10
	v_and_b32_e32 v6, 0xffff, v9
	v_lshl_or_b32 v4, v4, 16, v6
	v_mov_b32_e32 v6, v3
	v_and_or_b32 v3, v8, s5, v7
	v_cmp_ne_u32_e32 vcc, 0, v3
	global_store_dword v[5:6], v4, off
	v_cndmask_b32_e64 v3, 0, 1, vcc
	v_lshrrev_b32_e32 v4, 8, v8
	v_and_or_b32 v5, v4, s7, v3
	v_bfe_u32 v4, v8, 20, 11
	v_sub_u32_e32 v6, 0x3f1, v4
	v_or_b32_e32 v3, 0x1000, v5
	v_med3_i32 v6, v6, 0, 13
	v_lshrrev_b32_e32 v7, v6, v3
	v_lshlrev_b32_e32 v6, v6, v7
	v_cmp_ne_u32_e32 vcc, v6, v3
	v_cndmask_b32_e64 v3, 0, 1, vcc
	v_or_b32_e32 v3, v7, v3
	v_mul_f16_sdwa v7, v0, v21 dst_sel:DWORD dst_unused:UNUSED_PAD src0_sel:WORD_1 src1_sel:DWORD
	v_fma_f16 v0, v0, v13, -v7
	v_add_u32_e32 v6, 0xfffffc10, v4
	v_cvt_f32_f16_e32 v0, v0
	v_lshl_or_b32 v4, v6, 12, v5
	v_cmp_gt_i32_e32 vcc, 1, v6
	v_cndmask_b32_e32 v3, v4, v3, vcc
	v_and_b32_e32 v4, 7, v3
	v_cmp_lt_i32_e32 vcc, 5, v4
	v_cmp_eq_u32_e64 s[0:1], 3, v4
	v_lshrrev_b32_e32 v7, 2, v3
	v_cvt_f64_f32_e32 v[3:4], v0
	s_or_b64 vcc, s[0:1], vcc
	v_addc_co_u32_e32 v0, vcc, 0, v7, vcc
	v_mul_f64 v[3:4], v[3:4], s[2:3]
	v_cmp_gt_i32_e32 vcc, 31, v6
	v_cndmask_b32_e32 v0, v12, v0, vcc
	v_cmp_ne_u32_e32 vcc, 0, v5
	v_cndmask_b32_e64 v5, 0, 1, vcc
	v_lshl_or_b32 v5, v5, 9, v12
	v_cmp_eq_u32_e32 vcc, s6, v6
	v_cndmask_b32_e32 v0, v0, v5, vcc
	v_lshrrev_b32_e32 v5, 16, v8
	v_and_or_b32 v5, v5, s4, v0
	v_and_or_b32 v0, v4, s5, v3
	v_cmp_ne_u32_e32 vcc, 0, v0
	v_cndmask_b32_e64 v0, 0, 1, vcc
	v_lshrrev_b32_e32 v3, 8, v4
	v_bfe_u32 v6, v4, 20, 11
	v_and_or_b32 v0, v3, s7, v0
	v_sub_u32_e32 v7, 0x3f1, v6
	v_or_b32_e32 v3, 0x1000, v0
	v_med3_i32 v7, v7, 0, 13
	v_lshrrev_b32_e32 v8, v7, v3
	v_lshlrev_b32_e32 v7, v7, v8
	v_cmp_ne_u32_e32 vcc, v7, v3
	v_cndmask_b32_e64 v3, 0, 1, vcc
	v_add_u32_e32 v6, 0xfffffc10, v6
	v_or_b32_e32 v3, v8, v3
	v_lshl_or_b32 v7, v6, 12, v0
	v_cmp_gt_i32_e32 vcc, 1, v6
	v_cndmask_b32_e32 v3, v7, v3, vcc
	v_and_b32_e32 v7, 7, v3
	v_cmp_lt_i32_e32 vcc, 5, v7
	v_cmp_eq_u32_e64 s[0:1], 3, v7
	v_lshrrev_b32_e32 v3, 2, v3
	s_or_b64 vcc, s[0:1], vcc
	v_addc_co_u32_e32 v3, vcc, 0, v3, vcc
	v_cmp_gt_i32_e32 vcc, 31, v6
	v_cndmask_b32_e32 v3, v12, v3, vcc
	v_cmp_ne_u32_e32 vcc, 0, v0
	v_cndmask_b32_e64 v0, 0, 1, vcc
	v_lshl_or_b32 v7, v0, 9, v12
	v_mad_u64_u32 v[0:1], s[0:1], s8, 48, v[1:2]
	v_cmp_eq_u32_e32 vcc, s6, v6
	v_cndmask_b32_e32 v3, v3, v7, vcc
	v_mad_u64_u32 v[1:2], s[0:1], s9, 48, v[1:2]
	v_lshrrev_b32_e32 v4, 16, v4
	v_and_or_b32 v2, v4, s4, v3
	v_and_b32_e32 v3, 0xffff, v5
	v_lshl_or_b32 v2, v2, 16, v3
	global_store_dword v[0:1], v2, off
.LBB0_2:
	s_endpgm
	.section	.rodata,"a",@progbits
	.p2align	6, 0x0
	.amdhsa_kernel bluestein_single_back_len13_dim1_half_op_CI_CI
		.amdhsa_group_segment_fixed_size 3328
		.amdhsa_private_segment_fixed_size 0
		.amdhsa_kernarg_size 104
		.amdhsa_user_sgpr_count 6
		.amdhsa_user_sgpr_private_segment_buffer 1
		.amdhsa_user_sgpr_dispatch_ptr 0
		.amdhsa_user_sgpr_queue_ptr 0
		.amdhsa_user_sgpr_kernarg_segment_ptr 1
		.amdhsa_user_sgpr_dispatch_id 0
		.amdhsa_user_sgpr_flat_scratch_init 0
		.amdhsa_user_sgpr_private_segment_size 0
		.amdhsa_uses_dynamic_stack 0
		.amdhsa_system_sgpr_private_segment_wavefront_offset 0
		.amdhsa_system_sgpr_workgroup_id_x 1
		.amdhsa_system_sgpr_workgroup_id_y 0
		.amdhsa_system_sgpr_workgroup_id_z 0
		.amdhsa_system_sgpr_workgroup_info 0
		.amdhsa_system_vgpr_workitem_id 0
		.amdhsa_next_free_vgpr 87
		.amdhsa_next_free_sgpr 24
		.amdhsa_reserve_vcc 1
		.amdhsa_reserve_flat_scratch 0
		.amdhsa_float_round_mode_32 0
		.amdhsa_float_round_mode_16_64 0
		.amdhsa_float_denorm_mode_32 3
		.amdhsa_float_denorm_mode_16_64 3
		.amdhsa_dx10_clamp 1
		.amdhsa_ieee_mode 1
		.amdhsa_fp16_overflow 0
		.amdhsa_exception_fp_ieee_invalid_op 0
		.amdhsa_exception_fp_denorm_src 0
		.amdhsa_exception_fp_ieee_div_zero 0
		.amdhsa_exception_fp_ieee_overflow 0
		.amdhsa_exception_fp_ieee_underflow 0
		.amdhsa_exception_fp_ieee_inexact 0
		.amdhsa_exception_int_div_zero 0
	.end_amdhsa_kernel
	.text
.Lfunc_end0:
	.size	bluestein_single_back_len13_dim1_half_op_CI_CI, .Lfunc_end0-bluestein_single_back_len13_dim1_half_op_CI_CI
                                        ; -- End function
	.section	.AMDGPU.csdata,"",@progbits
; Kernel info:
; codeLenInByte = 14400
; NumSgprs: 28
; NumVgprs: 87
; ScratchSize: 0
; MemoryBound: 0
; FloatMode: 240
; IeeeMode: 1
; LDSByteSize: 3328 bytes/workgroup (compile time only)
; SGPRBlocks: 3
; VGPRBlocks: 21
; NumSGPRsForWavesPerEU: 28
; NumVGPRsForWavesPerEU: 87
; Occupancy: 2
; WaveLimiterHint : 1
; COMPUTE_PGM_RSRC2:SCRATCH_EN: 0
; COMPUTE_PGM_RSRC2:USER_SGPR: 6
; COMPUTE_PGM_RSRC2:TRAP_HANDLER: 0
; COMPUTE_PGM_RSRC2:TGID_X_EN: 1
; COMPUTE_PGM_RSRC2:TGID_Y_EN: 0
; COMPUTE_PGM_RSRC2:TGID_Z_EN: 0
; COMPUTE_PGM_RSRC2:TIDIG_COMP_CNT: 0
	.type	__hip_cuid_79f80966fa17a052,@object ; @__hip_cuid_79f80966fa17a052
	.section	.bss,"aw",@nobits
	.globl	__hip_cuid_79f80966fa17a052
__hip_cuid_79f80966fa17a052:
	.byte	0                               ; 0x0
	.size	__hip_cuid_79f80966fa17a052, 1

	.ident	"AMD clang version 19.0.0git (https://github.com/RadeonOpenCompute/llvm-project roc-6.4.0 25133 c7fe45cf4b819c5991fe208aaa96edf142730f1d)"
	.section	".note.GNU-stack","",@progbits
	.addrsig
	.addrsig_sym __hip_cuid_79f80966fa17a052
	.amdgpu_metadata
---
amdhsa.kernels:
  - .args:
      - .actual_access:  read_only
        .address_space:  global
        .offset:         0
        .size:           8
        .value_kind:     global_buffer
      - .actual_access:  read_only
        .address_space:  global
        .offset:         8
        .size:           8
        .value_kind:     global_buffer
      - .actual_access:  read_only
        .address_space:  global
        .offset:         16
        .size:           8
        .value_kind:     global_buffer
      - .actual_access:  read_only
        .address_space:  global
        .offset:         24
        .size:           8
        .value_kind:     global_buffer
      - .actual_access:  read_only
        .address_space:  global
        .offset:         32
        .size:           8
        .value_kind:     global_buffer
      - .offset:         40
        .size:           8
        .value_kind:     by_value
      - .address_space:  global
        .offset:         48
        .size:           8
        .value_kind:     global_buffer
      - .address_space:  global
        .offset:         56
        .size:           8
        .value_kind:     global_buffer
      - .address_space:  global
        .offset:         64
        .size:           8
        .value_kind:     global_buffer
      - .address_space:  global
        .offset:         72
        .size:           8
        .value_kind:     global_buffer
      - .offset:         80
        .size:           4
        .value_kind:     by_value
      - .address_space:  global
        .offset:         88
        .size:           8
        .value_kind:     global_buffer
      - .address_space:  global
        .offset:         96
        .size:           8
        .value_kind:     global_buffer
    .group_segment_fixed_size: 3328
    .kernarg_segment_align: 8
    .kernarg_segment_size: 104
    .language:       OpenCL C
    .language_version:
      - 2
      - 0
    .max_flat_workgroup_size: 64
    .name:           bluestein_single_back_len13_dim1_half_op_CI_CI
    .private_segment_fixed_size: 0
    .sgpr_count:     28
    .sgpr_spill_count: 0
    .symbol:         bluestein_single_back_len13_dim1_half_op_CI_CI.kd
    .uniform_work_group_size: 1
    .uses_dynamic_stack: false
    .vgpr_count:     87
    .vgpr_spill_count: 0
    .wavefront_size: 64
amdhsa.target:   amdgcn-amd-amdhsa--gfx906
amdhsa.version:
  - 1
  - 2
...

	.end_amdgpu_metadata
